;; amdgpu-corpus repo=ROCm/rocFFT kind=compiled arch=gfx1100 opt=O3
	.text
	.amdgcn_target "amdgcn-amd-amdhsa--gfx1100"
	.amdhsa_code_object_version 6
	.protected	bluestein_single_back_len5488_dim1_sp_op_CI_CI ; -- Begin function bluestein_single_back_len5488_dim1_sp_op_CI_CI
	.globl	bluestein_single_back_len5488_dim1_sp_op_CI_CI
	.p2align	8
	.type	bluestein_single_back_len5488_dim1_sp_op_CI_CI,@function
bluestein_single_back_len5488_dim1_sp_op_CI_CI: ; @bluestein_single_back_len5488_dim1_sp_op_CI_CI
; %bb.0:
	s_load_b128 s[16:19], s[0:1], 0x28
	v_mul_u32_u24_e32 v1, 0x14f, v0
	s_mov_b32 s2, exec_lo
	v_mov_b32_e32 v5, 0
	s_delay_alu instid0(VALU_DEP_2) | instskip(NEXT) | instid1(VALU_DEP_1)
	v_lshrrev_b32_e32 v1, 16, v1
	v_add_nc_u32_e32 v4, s15, v1
	s_waitcnt lgkmcnt(0)
	s_delay_alu instid0(VALU_DEP_1)
	v_cmpx_gt_u64_e64 s[16:17], v[4:5]
	s_cbranch_execz .LBB0_2
; %bb.1:
	s_clause 0x1
	s_load_b128 s[4:7], s[0:1], 0x18
	s_load_b128 s[8:11], s[0:1], 0x0
	v_mul_lo_u16 v1, 0xc4, v1
	s_load_b64 s[0:1], s[0:1], 0x38
	v_mov_b32_e32 v7, v4
	s_delay_alu instid0(VALU_DEP_2)
	v_sub_nc_u16 v28, v0, v1
	scratch_store_b64 off, v[7:8], off      ; 8-byte Folded Spill
	v_and_b32_e32 v0, 0xffff, v28
	v_mul_lo_u16 v65, v28, 7
	v_add_nc_u16 v88, v28, 0x310
	v_add_nc_u16 v92, v28, 0x3d4
	;; [unrolled: 1-line block ×3, first 2 shown]
	s_delay_alu instid0(VALU_DEP_4) | instskip(SKIP_2) | instid1(VALU_DEP_1)
	v_dual_mov_b32 v78, v0 :: v_dual_and_b32 v65, 0xffff, v65
	s_waitcnt lgkmcnt(0)
	s_load_b128 s[12:15], s[4:5], 0x0
	v_lshlrev_b32_e32 v65, 3, v65
	s_waitcnt lgkmcnt(0)
	v_mad_u64_u32 v[2:3], null, s14, v4, 0
	v_mad_u64_u32 v[4:5], null, s12, v0, 0
	v_lshlrev_b32_e32 v234, 3, v0
	s_mul_hi_u32 s4, s12, 0x1880
	s_mul_i32 s3, s12, 0x1880
	s_mul_i32 s5, s13, 0xffff7320
	s_delay_alu instid0(VALU_DEP_2) | instskip(SKIP_3) | instid1(VALU_DEP_1)
	v_mov_b32_e32 v1, v5
	global_load_b64 v[248:249], v234, s[8:9]
	v_mov_b32_e32 v0, v3
	v_add_co_u32 v254, s2, s8, v234
	v_add_co_ci_u32_e64 v255, null, s9, 0, s2
	s_delay_alu instid0(VALU_DEP_3) | instskip(NEXT) | instid1(VALU_DEP_3)
	v_mad_u64_u32 v[5:6], null, s15, v7, v[0:1]
	v_add_co_u32 v0, vcc_lo, 0x1000, v254
	v_add_co_u32 v6, s2, 0x3000, v254
	v_add_nc_u32_e32 v197, 0xc00, v234
	v_add_nc_u32_e32 v237, 0x2400, v234
	v_mov_b32_e32 v3, v5
	v_mad_u64_u32 v[7:8], null, s13, v78, v[1:2]
	v_add_co_ci_u32_e32 v1, vcc_lo, 0, v255, vcc_lo
	s_delay_alu instid0(VALU_DEP_3)
	v_lshlrev_b64 v[2:3], 3, v[2:3]
	v_add_nc_u32_e32 v42, 0x5400, v234
	v_add_nc_u32_e32 v38, 0x3c00, v234
	global_load_b64 v[25:26], v[0:1], off offset:2176
	v_mov_b32_e32 v5, v7
	v_add_co_ci_u32_e64 v7, vcc_lo, 0, v255, s2
	v_add_co_u32 v2, vcc_lo, s18, v2
	s_delay_alu instid0(VALU_DEP_3) | instskip(SKIP_4) | instid1(VALU_DEP_3)
	v_lshlrev_b64 v[4:5], 3, v[4:5]
	v_add_co_ci_u32_e32 v3, vcc_lo, s19, v3, vcc_lo
	s_mul_i32 s2, s13, 0x1880
	v_mov_b32_e32 v163, v42
	s_add_i32 s2, s4, s2
	v_add_co_u32 v2, vcc_lo, v2, v4
	v_add_co_ci_u32_e32 v3, vcc_lo, v3, v5, vcc_lo
	s_mul_hi_u32 s4, s12, 0xffff7320
	s_delay_alu instid0(VALU_DEP_2) | instskip(NEXT) | instid1(VALU_DEP_2)
	v_add_co_u32 v4, vcc_lo, v2, s3
	v_add_co_ci_u32_e32 v5, vcc_lo, s2, v3, vcc_lo
	global_load_b64 v[8:9], v[2:3], off
	v_add_co_u32 v10, vcc_lo, v4, s3
	v_add_co_ci_u32_e32 v11, vcc_lo, s2, v5, vcc_lo
	global_load_b64 v[12:13], v[4:5], off
	global_load_b64 v[23:24], v[6:7], off offset:256
	global_load_b64 v[14:15], v[10:11], off
	v_add_co_u32 v2, vcc_lo, 0x4000, v254
	v_add_co_ci_u32_e32 v3, vcc_lo, 0, v255, vcc_lo
	v_add_co_u32 v4, vcc_lo, 0x6000, v254
	v_add_co_ci_u32_e32 v5, vcc_lo, 0, v255, vcc_lo
	;; [unrolled: 2-line block ×3, first 2 shown]
	global_load_b64 v[21:22], v[2:3], off offset:2432
	v_add_co_u32 v18, vcc_lo, v10, s3
	v_add_co_ci_u32_e32 v19, vcc_lo, s2, v11, vcc_lo
	global_load_b64 v[10:11], v[10:11], off
	s_sub_i32 s4, s4, s12
	s_mul_i32 s12, s12, 0xffff7320
	s_add_i32 s4, s4, s5
	v_mov_b32_e32 v162, v38
	v_add_co_u32 v84, null, 0x188, v78
	v_add_co_u32 v85, null, 0x24c, v78
	v_mov_b32_e32 v155, v78
	s_waitcnt vmcnt(6)
	scratch_store_b64 off, v[25:26], off offset:152 ; 8-byte Folded Spill
	s_waitcnt vmcnt(5)
	v_mul_f32_e32 v16, v9, v249
	v_mul_f32_e32 v17, v8, v249
	s_delay_alu instid0(VALU_DEP_2) | instskip(SKIP_2) | instid1(VALU_DEP_3)
	v_fmac_f32_e32 v16, v8, v248
	s_waitcnt vmcnt(4)
	v_mul_f32_e32 v8, v13, v26
	v_fma_f32 v17, v9, v248, -v17
	s_waitcnt vmcnt(2)
	v_dual_mul_f32 v9, v12, v26 :: v_dual_mul_f32 v20, v14, v24
	s_delay_alu instid0(VALU_DEP_3) | instskip(SKIP_1) | instid1(VALU_DEP_3)
	v_fmac_f32_e32 v8, v12, v25
	v_mul_f32_e32 v12, v15, v24
	v_fma_f32 v9, v13, v25, -v9
	s_delay_alu instid0(VALU_DEP_4)
	v_fma_f32 v13, v15, v23, -v20
	global_load_b64 v[25:26], v[4:5], off offset:512
	scratch_store_b64 off, v[23:24], off offset:136 ; 8-byte Folded Spill
	v_fmac_f32_e32 v12, v14, v23
	v_add_co_u32 v14, vcc_lo, v18, s3
	v_add_co_ci_u32_e32 v15, vcc_lo, s2, v19, vcc_lo
	global_load_b64 v[18:19], v[18:19], off
	ds_store_b64 v234, v[8:9] offset:6272
	ds_store_b64 v234, v[12:13] offset:12544
	s_waitcnt vmcnt(2)
	v_mul_f32_e32 v8, v10, v22
	v_add_co_u32 v12, vcc_lo, 0x7000, v254
	v_add_co_ci_u32_e32 v13, vcc_lo, 0, v255, vcc_lo
	s_delay_alu instid0(VALU_DEP_3)
	v_fma_f32 v9, v11, v21, -v8
	v_mul_f32_e32 v8, v11, v22
	s_clause 0x1
	scratch_store_b64 off, v[248:249], off offset:224
	scratch_store_b64 off, v[21:22], off offset:144
	v_add_nc_u32_e32 v249, 0x3000, v234
	v_add_nc_u32_e32 v248, 0x1800, v234
	v_fmac_f32_e32 v8, v10, v21
	s_waitcnt vmcnt(1)
	scratch_store_b64 off, v[25:26], off offset:128 ; 8-byte Folded Spill
	s_waitcnt vmcnt(0)
	v_mul_f32_e32 v10, v19, v26
	v_mul_f32_e32 v11, v18, v26
	s_delay_alu instid0(VALU_DEP_2) | instskip(SKIP_1) | instid1(VALU_DEP_3)
	v_fmac_f32_e32 v10, v18, v25
	v_add_co_u32 v18, vcc_lo, v14, s3
	v_fma_f32 v11, v19, v25, -v11
	v_add_co_ci_u32_e32 v19, vcc_lo, s2, v15, vcc_lo
	global_load_b64 v[14:15], v[14:15], off
	global_load_b64 v[22:23], v[12:13], off offset:2688
	s_waitcnt vmcnt(0)
	v_mul_f32_e32 v20, v14, v23
	scratch_store_b64 off, v[22:23], off offset:120 ; 8-byte Folded Spill
	v_fma_f32 v21, v15, v22, -v20
	v_mul_f32_e32 v20, v15, v23
	s_delay_alu instid0(VALU_DEP_1)
	v_fmac_f32_e32 v20, v14, v22
	v_add_co_u32 v14, vcc_lo, 0x9000, v254
	v_add_co_ci_u32_e32 v15, vcc_lo, 0, v255, vcc_lo
	v_add_co_u32 v22, vcc_lo, v18, s12
	v_add_co_ci_u32_e32 v23, vcc_lo, s4, v19, vcc_lo
	global_load_b64 v[18:19], v[18:19], off
	s_clause 0x1
	global_load_b64 v[26:27], v[14:15], off offset:768
	global_load_b64 v[29:30], v234, s[8:9] offset:1568
	s_waitcnt vmcnt(1)
	v_mul_f32_e32 v24, v18, v27
	scratch_store_b64 off, v[26:27], off offset:112 ; 8-byte Folded Spill
	s_waitcnt vmcnt(0)
	scratch_store_b64 off, v[29:30], off offset:200 ; 8-byte Folded Spill
	v_fma_f32 v25, v19, v26, -v24
	v_mul_f32_e32 v24, v19, v27
	s_delay_alu instid0(VALU_DEP_1) | instskip(SKIP_3) | instid1(VALU_DEP_1)
	v_fmac_f32_e32 v24, v18, v26
	global_load_b64 v[18:19], v[22:23], off
	s_waitcnt vmcnt(0)
	v_mul_f32_e32 v26, v18, v30
	v_fma_f32 v27, v19, v29, -v26
	v_mul_f32_e32 v26, v19, v30
	s_delay_alu instid0(VALU_DEP_1)
	v_fmac_f32_e32 v26, v18, v29
	ds_store_b64 v234, v[8:9] offset:18816
	ds_store_b64 v234, v[10:11] offset:25088
	;; [unrolled: 1-line block ×4, first 2 shown]
	ds_store_2addr_b64 v234, v[16:17], v[26:27] offset1:196
	v_add_co_u32 v8, vcc_lo, v22, s3
	v_add_co_ci_u32_e32 v9, vcc_lo, s2, v23, vcc_lo
	s_delay_alu instid0(VALU_DEP_2) | instskip(NEXT) | instid1(VALU_DEP_2)
	v_add_co_u32 v10, vcc_lo, v8, s3
	v_add_co_ci_u32_e32 v11, vcc_lo, s2, v9, vcc_lo
	global_load_b64 v[8:9], v[8:9], off
	global_load_b64 v[18:19], v[0:1], off offset:3744
	s_waitcnt vmcnt(0)
	v_mul_f32_e32 v16, v8, v19
	scratch_store_b64 off, v[18:19], off offset:176 ; 8-byte Folded Spill
	v_fma_f32 v17, v9, v18, -v16
	v_mul_f32_e32 v16, v9, v19
	s_delay_alu instid0(VALU_DEP_1) | instskip(SKIP_2) | instid1(VALU_DEP_2)
	v_fmac_f32_e32 v16, v8, v18
	v_add_co_u32 v8, vcc_lo, v10, s3
	v_add_co_ci_u32_e32 v9, vcc_lo, s2, v11, vcc_lo
	v_add_co_u32 v18, vcc_lo, v8, s3
	s_delay_alu instid0(VALU_DEP_2) | instskip(NEXT) | instid1(VALU_DEP_2)
	v_add_co_ci_u32_e32 v19, vcc_lo, s2, v9, vcc_lo
	v_add_co_u32 v20, vcc_lo, v18, s3
	s_delay_alu instid0(VALU_DEP_2) | instskip(NEXT) | instid1(VALU_DEP_2)
	;; [unrolled: 3-line block ×3, first 2 shown]
	v_add_co_ci_u32_e32 v23, vcc_lo, s2, v21, vcc_lo
	v_add_co_u32 v24, vcc_lo, v22, s12
	s_delay_alu instid0(VALU_DEP_2) | instskip(SKIP_2) | instid1(VALU_DEP_4)
	v_add_co_ci_u32_e32 v25, vcc_lo, s4, v23, vcc_lo
	v_add_co_u32 v26, vcc_lo, 0x2000, v254
	v_add_co_ci_u32_e32 v27, vcc_lo, 0, v255, vcc_lo
	v_add_co_u32 v29, vcc_lo, v24, s3
	s_delay_alu instid0(VALU_DEP_4)
	v_add_co_ci_u32_e32 v30, vcc_lo, s2, v25, vcc_lo
	global_load_b64 v[34:35], v[26:27], off offset:1216
	global_load_b64 v[31:32], v[29:30], off
	s_waitcnt vmcnt(1)
	scratch_store_b64 off, v[34:35], off offset:40 ; 8-byte Folded Spill
	s_waitcnt vmcnt(0)
	v_mul_f32_e32 v33, v31, v35
	s_delay_alu instid0(VALU_DEP_1) | instskip(SKIP_1) | instid1(VALU_DEP_1)
	v_fma_f32 v33, v32, v34, -v33
	v_mul_f32_e32 v32, v32, v35
	v_fmac_f32_e32 v32, v31, v34
	v_add_nc_u32_e32 v31, 0x1e00, v234
	ds_store_2addr_b64 v31, v[16:17], v[32:33] offset0:20 offset1:216
	global_load_b64 v[10:11], v[10:11], off
	global_load_b64 v[31:32], v[6:7], off offset:1824
	v_add_co_u32 v16, vcc_lo, v29, s3
	v_add_co_ci_u32_e32 v17, vcc_lo, s2, v30, vcc_lo
	s_waitcnt vmcnt(0)
	v_mul_f32_e32 v29, v10, v32
	scratch_store_b64 off, v[31:32], off offset:216 ; 8-byte Folded Spill
	v_fma_f32 v30, v11, v31, -v29
	v_mul_f32_e32 v29, v11, v32
	s_delay_alu instid0(VALU_DEP_1)
	v_fmac_f32_e32 v29, v10, v31
	global_load_b64 v[31:32], v[6:7], off offset:3392
	global_load_b64 v[6:7], v[16:17], off
	s_waitcnt vmcnt(1)
	scratch_store_b64 off, v[31:32], off offset:48 ; 8-byte Folded Spill
	s_waitcnt vmcnt(0)
	v_mul_f32_e32 v10, v6, v32
	s_delay_alu instid0(VALU_DEP_1) | instskip(SKIP_1) | instid1(VALU_DEP_1)
	v_fma_f32 v11, v7, v31, -v10
	v_mul_f32_e32 v10, v7, v32
	v_fmac_f32_e32 v10, v6, v31
	v_add_nc_u32_e32 v6, 0x3600, v234
	ds_store_2addr_b64 v6, v[29:30], v[10:11] offset0:36 offset1:232
	v_add_co_u32 v6, vcc_lo, v16, s3
	v_add_co_ci_u32_e32 v7, vcc_lo, s2, v17, vcc_lo
	global_load_b64 v[8:9], v[8:9], off
	global_load_b64 v[16:17], v[2:3], off offset:4000
	global_load_b64 v[29:30], v[6:7], off
	s_waitcnt vmcnt(1)
	v_mul_f32_e32 v10, v8, v17
	scratch_store_b64 off, v[16:17], off offset:208 ; 8-byte Folded Spill
	v_fma_f32 v10, v9, v16, -v10
	v_mul_f32_e32 v9, v9, v17
	s_delay_alu instid0(VALU_DEP_1)
	v_fmac_f32_e32 v9, v8, v16
	v_add_co_u32 v16, vcc_lo, 0x5000, v254
	v_add_co_ci_u32_e32 v17, vcc_lo, 0, v255, vcc_lo
	v_add_co_u32 v6, vcc_lo, v6, s3
	v_add_co_ci_u32_e32 v7, vcc_lo, s2, v7, vcc_lo
	global_load_b64 v[32:33], v[16:17], off offset:1472
	s_waitcnt vmcnt(0)
	v_mul_f32_e32 v8, v29, v33
	scratch_store_b64 off, v[32:33], off offset:24 ; 8-byte Folded Spill
	v_fma_f32 v31, v30, v32, -v8
	v_mul_f32_e32 v30, v30, v33
	v_add_nc_u32_e32 v8, 0x4e00, v234
	s_delay_alu instid0(VALU_DEP_2)
	v_fmac_f32_e32 v30, v29, v32
	ds_store_2addr_b64 v8, v[9:10], v[30:31] offset0:52 offset1:248
	global_load_b64 v[8:9], v[18:19], off
	s_clause 0x1
	global_load_b64 v[18:19], v[4:5], off offset:2080
	global_load_b64 v[29:30], v[4:5], off offset:3648
	global_load_b64 v[4:5], v[6:7], off
	s_waitcnt vmcnt(2)
	v_mul_f32_e32 v10, v8, v19
	scratch_store_b64 off, v[18:19], off offset:192 ; 8-byte Folded Spill
	s_waitcnt vmcnt(1)
	scratch_store_b64 off, v[29:30], off offset:32 ; 8-byte Folded Spill
	v_fma_f32 v10, v9, v18, -v10
	v_mul_f32_e32 v9, v9, v19
	s_delay_alu instid0(VALU_DEP_1) | instskip(SKIP_3) | instid1(VALU_DEP_2)
	v_fmac_f32_e32 v9, v8, v18
	s_waitcnt vmcnt(0)
	v_mul_f32_e32 v8, v4, v30
	v_mul_f32_e32 v18, v5, v30
	v_fma_f32 v19, v5, v29, -v8
	s_delay_alu instid0(VALU_DEP_2)
	v_fmac_f32_e32 v18, v4, v29
	v_add_nc_u32_e32 v4, 0x6800, v234
	ds_store_2addr_b64 v4, v[9:10], v[18:19] offset0:4 offset1:200
	v_add_co_u32 v4, vcc_lo, v6, s3
	v_add_co_ci_u32_e32 v5, vcc_lo, s2, v7, vcc_lo
	v_add_co_u32 v6, vcc_lo, 0x8000, v254
	v_add_co_ci_u32_e32 v7, vcc_lo, 0, v255, vcc_lo
	global_load_b64 v[8:9], v[20:21], off
	s_clause 0x1
	global_load_b64 v[18:19], v[6:7], off offset:160
	global_load_b64 v[29:30], v[6:7], off offset:1728
	s_waitcnt vmcnt(1)
	v_mul_f32_e32 v10, v8, v19
	scratch_store_b64 off, v[18:19], off offset:184 ; 8-byte Folded Spill
	s_waitcnt vmcnt(0)
	scratch_store_b64 off, v[29:30], off offset:8 ; 8-byte Folded Spill
	v_fma_f32 v10, v9, v18, -v10
	v_mul_f32_e32 v9, v9, v19
	s_delay_alu instid0(VALU_DEP_1)
	v_fmac_f32_e32 v9, v8, v18
	global_load_b64 v[18:19], v[4:5], off
	v_add_co_u32 v4, vcc_lo, v4, s3
	v_add_co_ci_u32_e32 v5, vcc_lo, s2, v5, vcc_lo
	s_waitcnt vmcnt(0)
	v_mul_f32_e32 v8, v18, v30
	s_delay_alu instid0(VALU_DEP_1) | instskip(SKIP_1) | instid1(VALU_DEP_1)
	v_fma_f32 v20, v19, v29, -v8
	v_mul_f32_e32 v19, v19, v30
	v_dual_fmac_f32 v19, v18, v29 :: v_dual_add_nc_u32 v8, 0x8000, v234
	ds_store_2addr_b64 v8, v[9:10], v[19:20] offset0:20 offset1:216
	global_load_b64 v[8:9], v[22:23], off
	s_clause 0x1
	global_load_b64 v[18:19], v[14:15], off offset:2336
	global_load_b64 v[20:21], v[14:15], off offset:3904
	global_load_b64 v[14:15], v[4:5], off
	v_add_co_u32 v4, vcc_lo, v4, s12
	v_add_co_ci_u32_e32 v5, vcc_lo, s4, v5, vcc_lo
	s_waitcnt vmcnt(2)
	v_mul_f32_e32 v10, v8, v19
	scratch_store_b64 off, v[18:19], off offset:168 ; 8-byte Folded Spill
	s_waitcnt vmcnt(1)
	scratch_store_b64 off, v[20:21], off offset:16 ; 8-byte Folded Spill
	v_fma_f32 v10, v9, v18, -v10
	v_mul_f32_e32 v9, v9, v19
	s_waitcnt vmcnt(0)
	s_delay_alu instid0(VALU_DEP_1) | instskip(SKIP_1) | instid1(VALU_DEP_2)
	v_dual_fmac_f32 v9, v8, v18 :: v_dual_mul_f32 v8, v14, v21
	v_mul_f32_e32 v18, v15, v21
	v_fma_f32 v19, v15, v20, -v8
	s_delay_alu instid0(VALU_DEP_2)
	v_fmac_f32_e32 v18, v14, v20
	v_add_nc_u32_e32 v8, 0x9800, v234
	ds_store_2addr_b64 v8, v[9:10], v[18:19] offset0:36 offset1:232
	global_load_b64 v[8:9], v[24:25], off
	s_clause 0x1
	global_load_b64 v[14:15], v234, s[8:9] offset:3136
	global_load_b64 v[18:19], v[0:1], off offset:608
	global_load_b64 v[0:1], v[4:5], off
	s_waitcnt vmcnt(2)
	v_mul_f32_e32 v10, v8, v15
	scratch_store_b64 off, v[14:15], off offset:160 ; 8-byte Folded Spill
	v_fma_f32 v10, v9, v14, -v10
	v_mul_f32_e32 v9, v9, v15
	s_waitcnt vmcnt(0)
	s_delay_alu instid0(VALU_DEP_1) | instskip(SKIP_1) | instid1(VALU_DEP_2)
	v_dual_fmac_f32 v9, v8, v14 :: v_dual_mul_f32 v14, v1, v19
	v_mul_f32_e32 v8, v0, v19
	v_fmac_f32_e32 v14, v0, v18
	v_add_co_u32 v0, vcc_lo, v4, s3
	s_delay_alu instid0(VALU_DEP_3) | instskip(SKIP_1) | instid1(VALU_DEP_3)
	v_fma_f32 v15, v1, v18, -v8
	v_add_co_ci_u32_e32 v1, vcc_lo, s2, v5, vcc_lo
	v_add_co_u32 v4, vcc_lo, v0, s3
	ds_store_2addr_b64 v197, v[9:10], v[14:15] offset0:8 offset1:204
	global_load_b64 v[10:11], v[26:27], off offset:2784
	v_add_co_ci_u32_e32 v5, vcc_lo, s2, v1, vcc_lo
	global_load_b64 v[0:1], v[0:1], off
	global_load_b64 v[14:15], v[12:13], off offset:1120
	s_waitcnt vmcnt(2)
	scratch_store_b64 off, v[10:11], off offset:96 ; 8-byte Folded Spill
	s_waitcnt vmcnt(1)
	v_mul_f32_e32 v8, v0, v11
	s_waitcnt vmcnt(0)
	scratch_store_b64 off, v[14:15], off offset:72 ; 8-byte Folded Spill
	v_fma_f32 v9, v1, v10, -v8
	v_mul_f32_e32 v8, v1, v11
	s_delay_alu instid0(VALU_DEP_1)
	v_fmac_f32_e32 v8, v0, v10
	global_load_b64 v[10:11], v[2:3], off offset:864
	global_load_b64 v[2:3], v[4:5], off
	v_add_co_u32 v0, vcc_lo, v4, s3
	v_add_co_ci_u32_e32 v1, vcc_lo, s2, v5, vcc_lo
	ds_store_b64 v234, v[8:9] offset:10976
	v_add_co_u32 v8, vcc_lo, v0, s3
	v_add_co_ci_u32_e32 v9, vcc_lo, s2, v1, vcc_lo
	global_load_b64 v[0:1], v[0:1], off
	s_waitcnt vmcnt(2)
	scratch_store_b64 off, v[10:11], off offset:88 ; 8-byte Folded Spill
	s_waitcnt vmcnt(1)
	v_mul_f32_e32 v4, v2, v11
	s_delay_alu instid0(VALU_DEP_1) | instskip(SKIP_1) | instid1(VALU_DEP_1)
	v_fma_f32 v4, v3, v10, -v4
	v_mul_f32_e32 v3, v3, v11
	v_fmac_f32_e32 v3, v2, v10
	global_load_b64 v[10:11], v[16:17], off offset:3040
	v_add_nc_u32_e32 v16, 0x7a00, v234
	v_add_nc_u32_e32 v17, 0x4800, v234
	s_delay_alu instid0(VALU_DEP_2) | instskip(SKIP_1) | instid1(VALU_DEP_2)
	v_mov_b32_e32 v157, v16
	s_waitcnt vmcnt(0)
	v_dual_mov_b32 v159, v17 :: v_dual_mul_f32 v2, v0, v11
	scratch_store_b64 off, v[10:11], off offset:80 ; 8-byte Folded Spill
	v_fma_f32 v2, v1, v10, -v2
	v_mul_f32_e32 v1, v1, v11
	s_delay_alu instid0(VALU_DEP_1)
	v_fmac_f32_e32 v1, v0, v10
	v_add_co_u32 v10, vcc_lo, v8, s3
	v_add_co_ci_u32_e32 v11, vcc_lo, s2, v9, vcc_lo
	global_load_b64 v[8:9], v[8:9], off
	v_add_co_u32 v5, vcc_lo, v10, s3
	s_waitcnt vmcnt(0)
	v_mul_f32_e32 v0, v8, v15
	v_mul_f32_e32 v12, v9, v15
	s_delay_alu instid0(VALU_DEP_2) | instskip(NEXT) | instid1(VALU_DEP_2)
	v_fma_f32 v13, v9, v14, -v0
	v_fmac_f32_e32 v12, v8, v14
	global_load_b64 v[14:15], v[6:7], off offset:3296
	v_add_co_ci_u32_e32 v6, vcc_lo, s2, v11, vcc_lo
	v_add_co_u32 v219, vcc_lo, 0xa000, v254
	global_load_b64 v[7:8], v[10:11], off
	v_add_co_ci_u32_e32 v220, vcc_lo, 0, v255, vcc_lo
	scratch_store_b64 off, v[18:19], off offset:104 ; 8-byte Folded Spill
	s_waitcnt vmcnt(1)
	scratch_store_b64 off, v[14:15], off offset:64 ; 8-byte Folded Spill
	global_load_b64 v[5:6], v[5:6], off
	global_load_b64 v[10:11], v[219:220], off offset:1376
	s_waitcnt vmcnt(2)
	v_mul_f32_e32 v0, v7, v15
	s_delay_alu instid0(VALU_DEP_1) | instskip(SKIP_1) | instid1(VALU_DEP_1)
	v_fma_f32 v9, v8, v14, -v0
	v_mul_f32_e32 v8, v8, v15
	v_fmac_f32_e32 v8, v7, v14
	s_waitcnt vmcnt(0)
	v_mul_f32_e32 v0, v5, v11
	scratch_store_b64 off, v[10:11], off offset:56 ; 8-byte Folded Spill
	v_fma_f32 v7, v6, v10, -v0
	v_mul_f32_e32 v6, v6, v11
	s_delay_alu instid0(VALU_DEP_1)
	v_fmac_f32_e32 v6, v5, v10
	ds_store_b64 v234, v[3:4] offset:17248
	ds_store_b64 v234, v[1:2] offset:23520
	ds_store_b64 v234, v[12:13] offset:29792
	ds_store_b64 v234, v[8:9] offset:36064
	ds_store_b64 v234, v[6:7] offset:42336
	v_add_nc_u32_e32 v4, 0x9200, v234
	s_load_b128 s[4:7], s[6:7], 0x0
	s_waitcnt lgkmcnt(0)
	s_waitcnt_vscnt null, 0x0
	s_barrier
	buffer_gl0_inv
	ds_load_2addr_b64 v[0:3], v248 offset0:16 offset1:212
	ds_load_2addr_b64 v[6:9], v4 offset0:32 offset1:228
	v_mov_b32_e32 v156, v4
	s_mul_hi_u32 s3, s4, 0x1880
	s_waitcnt lgkmcnt(0)
	v_dual_add_f32 v4, v0, v6 :: v_dual_add_f32 v5, v1, v7
	v_dual_sub_f32 v7, v1, v7 :: v_dual_sub_f32 v6, v0, v6
	v_dual_add_f32 v0, v2, v8 :: v_dual_add_f32 v1, v3, v9
	v_dual_sub_f32 v2, v2, v8 :: v_dual_sub_f32 v3, v3, v9
	ds_load_2addr_b64 v[8:11], v249 offset0:32 offset1:228
	ds_load_2addr_b64 v[12:15], v16 offset0:16 offset1:212
	s_waitcnt lgkmcnt(0)
	v_dual_add_f32 v21, v9, v13 :: v_dual_add_nc_u32 v16, 0x6200, v234
	v_add_f32_e32 v20, v8, v12
	v_dual_sub_f32 v22, v8, v12 :: v_dual_sub_f32 v23, v9, v13
	v_dual_add_f32 v8, v10, v14 :: v_dual_add_f32 v9, v11, v15
	v_dual_sub_f32 v10, v10, v14 :: v_dual_sub_f32 v11, v11, v15
	ds_load_2addr_b64 v[12:15], v17 offset0:48 offset1:244
	ds_load_2addr_b64 v[29:32], v16 offset1:196
	s_waitcnt lgkmcnt(0)
	v_dual_mov_b32 v158, v16 :: v_dual_sub_f32 v25, v29, v12
	v_sub_f32_e32 v24, v30, v13
	v_dual_add_f32 v27, v12, v29 :: v_dual_add_nc_u32 v12, 0x9e00, v234
	v_add_f32_e32 v19, v14, v31
	s_delay_alu instid0(VALU_DEP_4) | instskip(NEXT) | instid1(VALU_DEP_4)
	v_sub_f32_e32 v69, v25, v22
	v_dual_sub_f32 v71, v24, v23 :: v_dual_sub_f32 v70, v6, v25
	v_sub_f32_e32 v72, v7, v24
	v_sub_f32_e32 v17, v31, v14
	s_delay_alu instid0(VALU_DEP_4) | instskip(SKIP_3) | instid1(VALU_DEP_3)
	v_dual_mul_f32 v69, 0xbf08b237, v69 :: v_dual_add_f32 v68, v25, v22
	v_add_f32_e32 v25, v24, v23
	v_dual_mul_f32 v71, 0xbf08b237, v71 :: v_dual_add_f32 v26, v13, v30
	v_dual_sub_f32 v16, v32, v15 :: v_dual_add_nc_u32 v29, 0x8600, v234
	v_add_f32_e32 v73, v25, v7
	s_delay_alu instid0(VALU_DEP_3)
	v_dual_fmamk_f32 v75, v72, 0x3eae86e6, v71 :: v_dual_add_f32 v18, v15, v32
	v_sub_f32_e32 v7, v23, v7
	ds_load_2addr_b64 v[30:33], v237 offset0:24 offset1:220
	ds_load_2addr_b64 v[34:37], v12 offset0:40 offset1:236
	v_add_f32_e32 v68, v68, v6
	v_dual_sub_f32 v6, v22, v6 :: v_dual_mov_b32 v79, v12
	v_fma_f32 v23, 0x3f5ff5aa, v7, -v71
	v_mov_b32_e32 v80, v29
	v_sub_f32_e32 v67, v5, v26
	v_dual_fmac_f32 v75, 0x3ee1c552, v73 :: v_dual_sub_f32 v66, v4, v27
	s_delay_alu instid0(VALU_DEP_4) | instskip(NEXT) | instid1(VALU_DEP_3)
	v_fmac_f32_e32 v23, 0x3ee1c552, v73
	v_mul_f32_e32 v67, 0x3f4a47b2, v67
	s_waitcnt lgkmcnt(0)
	v_dual_sub_f32 v15, v31, v35 :: v_dual_mul_f32 v22, 0xbf5ff5aa, v6
	v_dual_add_f32 v12, v30, v34 :: v_dual_add_f32 v13, v31, v35
	v_sub_f32_e32 v14, v30, v34
	v_add_f32_e32 v30, v32, v36
	s_delay_alu instid0(VALU_DEP_4) | instskip(NEXT) | instid1(VALU_DEP_1)
	v_dual_fmac_f32 v22, 0xbeae86e6, v70 :: v_dual_add_f32 v31, v33, v37
	v_dual_sub_f32 v33, v33, v37 :: v_dual_fmac_f32 v22, 0x3ee1c552, v68
	v_sub_f32_e32 v32, v32, v36
	ds_load_2addr_b64 v[34:37], v38 offset0:40 offset1:236
	ds_load_2addr_b64 v[38:41], v29 offset0:24 offset1:220
	v_add_nc_u32_e32 v29, 0x6e00, v234
	s_delay_alu instid0(VALU_DEP_1)
	v_mov_b32_e32 v161, v29
	s_waitcnt lgkmcnt(0)
	v_dual_sub_f32 v49, v35, v39 :: v_dual_fmamk_f32 v74, v70, 0x3eae86e6, v69
	v_dual_add_f32 v46, v34, v38 :: v_dual_add_f32 v47, v35, v39
	v_sub_f32_e32 v48, v34, v38
	v_dual_add_f32 v34, v36, v40 :: v_dual_add_f32 v35, v37, v41
	s_delay_alu instid0(VALU_DEP_4)
	v_dual_sub_f32 v37, v37, v41 :: v_dual_fmac_f32 v74, 0x3ee1c552, v68
	v_sub_f32_e32 v36, v36, v40
	ds_load_2addr_b64 v[38:41], v42 offset0:56 offset1:252
	ds_load_2addr_b64 v[42:45], v29 offset0:8 offset1:204
	v_add_f32_e32 v29, v20, v4
	s_waitcnt lgkmcnt(0)
	s_delay_alu instid0(VALU_DEP_1) | instskip(SKIP_3) | instid1(VALU_DEP_2)
	v_dual_add_f32 v29, v27, v29 :: v_dual_add_f32 v50, v38, v42
	v_sub_f32_e32 v52, v42, v38
	v_dual_add_f32 v38, v21, v5 :: v_dual_add_f32 v51, v39, v43
	v_dual_sub_f32 v53, v43, v39 :: v_dual_add_f32 v54, v40, v44
	v_dual_add_f32 v55, v41, v45 :: v_dual_add_f32 v58, v26, v38
	v_add_f32_e32 v38, v8, v0
	v_dual_sub_f32 v56, v44, v40 :: v_dual_sub_f32 v57, v45, v41
	v_sub_f32_e32 v26, v26, v21
	v_sub_f32_e32 v5, v21, v5
	s_delay_alu instid0(VALU_DEP_4) | instskip(SKIP_3) | instid1(VALU_DEP_4)
	v_dual_add_f32 v59, v19, v38 :: v_dual_add_f32 v38, v9, v1
	v_fma_f32 v21, 0x3f5ff5aa, v6, -v69
	v_mul_f32_e32 v66, 0x3f4a47b2, v66
	v_mul_f32_e32 v6, 0x3d64c772, v26
	v_add_f32_e32 v60, v18, v38
	ds_load_2addr_b64 v[38:41], v234 offset1:196
	v_fmac_f32_e32 v21, 0x3ee1c552, v68
	v_fma_f32 v6, 0x3f3bfb3b, v5, -v6
	v_fma_f32 v5, 0xbf3bfb3b, v5, -v67
	s_waitcnt lgkmcnt(0)
	v_add_f32_e32 v42, v38, v29
	v_dual_add_f32 v38, v46, v12 :: v_dual_add_f32 v43, v39, v58
	v_dual_add_f32 v44, v40, v59 :: v_dual_add_f32 v45, v41, v60
	s_delay_alu instid0(VALU_DEP_3) | instskip(NEXT) | instid1(VALU_DEP_3)
	v_fmamk_f32 v29, v29, 0xbf955555, v42
	v_dual_add_f32 v61, v50, v38 :: v_dual_add_f32 v38, v47, v13
	s_delay_alu instid0(VALU_DEP_4) | instskip(NEXT) | instid1(VALU_DEP_2)
	v_fmamk_f32 v58, v58, 0xbf955555, v43
	v_add_f32_e32 v62, v51, v38
	v_add_f32_e32 v38, v34, v30
	s_delay_alu instid0(VALU_DEP_1) | instskip(SKIP_3) | instid1(VALU_DEP_3)
	v_add_f32_e32 v63, v54, v38
	v_sub_f32_e32 v27, v27, v20
	v_add_f32_e32 v38, v35, v31
	v_sub_f32_e32 v4, v20, v4
	v_fmamk_f32 v24, v27, 0x3d64c772, v66
	s_delay_alu instid0(VALU_DEP_3)
	v_add_f32_e32 v64, v55, v38
	ds_load_2addr_b64 v[38:41], v197 offset0:8 offset1:204
	s_waitcnt lgkmcnt(0)
	s_barrier
	v_add_f32_e32 v76, v24, v29
	v_fmamk_f32 v24, v26, 0x3d64c772, v67
	buffer_gl0_inv
	v_mul_f32_e32 v20, 0x3d64c772, v27
	v_add_f32_e32 v26, v5, v58
	v_add_f32_e32 v27, v6, v58
	;; [unrolled: 1-line block ×4, first 2 shown]
	v_fma_f32 v20, 0x3f3bfb3b, v4, -v20
	v_fma_f32 v4, 0xbf3bfb3b, v4, -v66
	v_sub_f32_e32 v5, v26, v22
	s_delay_alu instid0(VALU_DEP_3)
	v_dual_sub_f32 v25, v77, v74 :: v_dual_add_f32 v20, v20, v29
	ds_store_2addr_b64 v65, v[42:43], v[24:25] offset1:1
	v_dual_mul_f32 v24, 0xbf5ff5aa, v7 :: v_dual_add_f32 v25, v4, v29
	v_sub_f32_e32 v6, v20, v23
	v_add_f32_e32 v7, v21, v27
	v_add_co_u32 v29, null, 0xc4, v78
	s_delay_alu instid0(VALU_DEP_4) | instskip(NEXT) | instid1(VALU_DEP_1)
	v_fmac_f32_e32 v24, 0xbeae86e6, v72
	v_fmac_f32_e32 v24, 0x3ee1c552, v73
	s_delay_alu instid0(VALU_DEP_1)
	v_add_f32_e32 v4, v24, v25
	ds_store_2addr_b64 v65, v[4:5], v[6:7] offset0:2 offset1:3
	v_add_f32_e32 v4, v23, v20
	v_dual_sub_f32 v5, v27, v21 :: v_dual_sub_f32 v6, v25, v24
	v_dual_add_f32 v7, v22, v26 :: v_dual_add_f32 v20, v16, v11
	v_dual_sub_f32 v21, v16, v11 :: v_dual_sub_f32 v16, v3, v16
	ds_store_2addr_b64 v65, v[4:5], v[6:7] offset0:4 offset1:5
	v_dual_sub_f32 v4, v76, v75 :: v_dual_add_f32 v5, v74, v77
	v_add_f32_e32 v20, v20, v3
	v_sub_f32_e32 v3, v11, v3
	v_dual_sub_f32 v7, v18, v9 :: v_dual_sub_f32 v6, v19, v8
	ds_store_b64 v65, v[4:5] offset:48
	v_dual_sub_f32 v4, v0, v19 :: v_dual_sub_f32 v5, v1, v18
	v_sub_f32_e32 v1, v9, v1
	v_mul_f32_e32 v9, 0xbf5ff5aa, v3
	s_delay_alu instid0(VALU_DEP_3) | instskip(SKIP_1) | instid1(VALU_DEP_3)
	v_dual_sub_f32 v19, v17, v10 :: v_dual_mul_f32 v22, 0x3f4a47b2, v4
	v_dual_mul_f32 v21, 0xbf08b237, v21 :: v_dual_add_f32 v18, v17, v10
	v_fmac_f32_e32 v9, 0xbeae86e6, v16
	v_sub_f32_e32 v17, v2, v17
	s_delay_alu instid0(VALU_DEP_4)
	v_mul_f32_e32 v19, 0xbf08b237, v19
	v_mul_f32_e32 v23, 0x3f4a47b2, v5
	v_fmamk_f32 v27, v16, 0x3eae86e6, v21
	v_fmamk_f32 v4, v6, 0x3d64c772, v22
	v_fmac_f32_e32 v9, 0x3ee1c552, v20
	v_dual_add_f32 v41, v41, v64 :: v_dual_fmamk_f32 v24, v59, 0xbf955555, v44
	v_add_f32_e32 v18, v18, v2
	v_fmamk_f32 v26, v17, 0x3eae86e6, v19
	v_fmac_f32_e32 v27, 0x3ee1c552, v20
	v_fmamk_f32 v25, v60, 0xbf955555, v45
	v_add_f32_e32 v42, v4, v24
	v_fmamk_f32 v4, v7, 0x3d64c772, v23
	v_fmac_f32_e32 v26, 0x3ee1c552, v18
	v_sub_f32_e32 v2, v10, v2
	v_sub_f32_e32 v0, v8, v0
	v_fma_f32 v8, 0x3f5ff5aa, v3, -v21
	v_add_f32_e32 v43, v4, v25
	v_mul_u32_u24_e32 v4, 7, v29
	s_delay_alu instid0(VALU_DEP_3) | instskip(NEXT) | instid1(VALU_DEP_2)
	v_dual_add_f32 v39, v39, v62 :: v_dual_fmac_f32 v8, 0x3ee1c552, v20
	v_dual_sub_f32 v5, v43, v26 :: v_dual_lshlrev_b32 v58, 3, v4
	v_add_f32_e32 v4, v42, v27
	ds_store_2addr_b64 v58, v[44:45], v[4:5] offset1:1
	v_mul_f32_e32 v4, 0x3d64c772, v6
	v_fma_f32 v5, 0x3f5ff5aa, v2, -v19
	v_mul_f32_e32 v6, 0xbf5ff5aa, v2
	v_mul_f32_e32 v2, 0x3d64c772, v7
	s_delay_alu instid0(VALU_DEP_4) | instskip(SKIP_1) | instid1(VALU_DEP_4)
	v_fma_f32 v4, 0x3f3bfb3b, v0, -v4
	v_fma_f32 v0, 0xbf3bfb3b, v0, -v22
	v_fmac_f32_e32 v6, 0xbeae86e6, v17
	s_delay_alu instid0(VALU_DEP_4) | instskip(SKIP_1) | instid1(VALU_DEP_4)
	v_fma_f32 v2, 0x3f3bfb3b, v1, -v2
	v_fma_f32 v1, 0xbf3bfb3b, v1, -v23
	v_dual_add_f32 v38, v38, v61 :: v_dual_add_f32 v7, v0, v24
	s_delay_alu instid0(VALU_DEP_3)
	v_dual_add_f32 v40, v40, v63 :: v_dual_add_f32 v11, v2, v25
	v_fmac_f32_e32 v5, 0x3ee1c552, v18
	v_fmac_f32_e32 v6, 0x3ee1c552, v18
	v_add_f32_e32 v4, v4, v24
	v_add_f32_e32 v10, v1, v25
	;; [unrolled: 1-line block ×4, first 2 shown]
	v_fmamk_f32 v16, v61, 0xbf955555, v38
	s_delay_alu instid0(VALU_DEP_4)
	v_dual_sub_f32 v2, v4, v8 :: v_dual_sub_f32 v1, v10, v6
	v_fmamk_f32 v17, v62, 0xbf955555, v39
	v_mul_u32_u24_e32 v22, 7, v84
	ds_store_2addr_b64 v58, v[0:1], v[2:3] offset0:2 offset1:3
	v_dual_add_f32 v0, v8, v4 :: v_dual_sub_f32 v1, v11, v5
	v_dual_sub_f32 v2, v7, v9 :: v_dual_add_f32 v3, v6, v10
	v_dual_sub_f32 v5, v52, v48 :: v_dual_sub_f32 v8, v53, v49
	v_add_f32_e32 v4, v52, v48
	v_sub_f32_e32 v6, v14, v52
	ds_store_2addr_b64 v58, v[0:1], v[2:3] offset0:4 offset1:5
	v_sub_f32_e32 v0, v42, v27
	v_add_f32_e32 v1, v26, v43
	v_dual_sub_f32 v2, v50, v46 :: v_dual_sub_f32 v3, v51, v47
	v_add_f32_e32 v7, v53, v49
	v_sub_f32_e32 v9, v15, v53
	ds_store_b64 v58, v[0:1] offset:48
	v_dual_sub_f32 v0, v12, v50 :: v_dual_sub_f32 v1, v13, v51
	v_dual_mul_f32 v5, 0xbf08b237, v5 :: v_dual_mul_f32 v8, 0xbf08b237, v8
	v_add_f32_e32 v4, v4, v14
	s_delay_alu instid0(VALU_DEP_3) | instskip(NEXT) | instid1(VALU_DEP_3)
	v_dual_mul_f32 v10, 0x3f4a47b2, v0 :: v_dual_mul_f32 v11, 0x3f4a47b2, v1
	v_dual_add_f32 v7, v7, v15 :: v_dual_fmamk_f32 v20, v9, 0x3eae86e6, v8
	s_delay_alu instid0(VALU_DEP_4) | instskip(NEXT) | instid1(VALU_DEP_3)
	v_fmamk_f32 v21, v6, 0x3eae86e6, v5
	v_fmamk_f32 v0, v2, 0x3d64c772, v10
	v_lshlrev_b32_e32 v22, 3, v22
	v_mul_f32_e32 v2, 0x3d64c772, v2
	s_delay_alu instid0(VALU_DEP_4) | instskip(NEXT) | instid1(VALU_DEP_4)
	v_dual_fmac_f32 v20, 0x3ee1c552, v7 :: v_dual_fmac_f32 v21, 0x3ee1c552, v4
	v_add_f32_e32 v18, v0, v16
	v_dual_fmamk_f32 v0, v3, 0x3d64c772, v11 :: v_dual_mul_f32 v3, 0x3d64c772, v3
	s_delay_alu instid0(VALU_DEP_1) | instskip(NEXT) | instid1(VALU_DEP_1)
	v_dual_add_f32 v19, v0, v17 :: v_dual_add_f32 v0, v18, v20
	v_sub_f32_e32 v1, v19, v21
	ds_store_2addr_b64 v22, v[38:39], v[0:1] offset1:1
	v_sub_f32_e32 v0, v46, v12
	v_dual_sub_f32 v12, v48, v14 :: v_dual_sub_f32 v1, v47, v13
	v_sub_f32_e32 v13, v49, v15
	s_delay_alu instid0(VALU_DEP_3) | instskip(SKIP_1) | instid1(VALU_DEP_4)
	v_fma_f32 v2, 0x3f3bfb3b, v0, -v2
	v_fma_f32 v0, 0xbf3bfb3b, v0, -v10
	v_mul_f32_e32 v10, 0xbf5ff5aa, v12
	v_fma_f32 v3, 0x3f3bfb3b, v1, -v3
	v_fma_f32 v1, 0xbf3bfb3b, v1, -v11
	;; [unrolled: 1-line block ×3, first 2 shown]
	s_delay_alu instid0(VALU_DEP_4) | instskip(SKIP_3) | instid1(VALU_DEP_4)
	v_dual_add_f32 v11, v0, v16 :: v_dual_fmac_f32 v10, 0xbeae86e6, v6
	v_fma_f32 v6, 0x3f5ff5aa, v13, -v8
	v_mul_f32_e32 v8, 0xbf5ff5aa, v13
	v_add_f32_e32 v12, v3, v17
	v_dual_add_f32 v13, v1, v17 :: v_dual_fmac_f32 v10, 0x3ee1c552, v4
	s_delay_alu instid0(VALU_DEP_4) | instskip(NEXT) | instid1(VALU_DEP_4)
	v_fmac_f32_e32 v6, 0x3ee1c552, v7
	v_dual_fmac_f32 v8, 0xbeae86e6, v9 :: v_dual_add_f32 v9, v2, v16
	v_fmac_f32_e32 v5, 0x3ee1c552, v4
	s_delay_alu instid0(VALU_DEP_4) | instskip(NEXT) | instid1(VALU_DEP_3)
	v_dual_sub_f32 v1, v13, v10 :: v_dual_add_f32 v4, v56, v36
	v_fmac_f32_e32 v8, 0x3ee1c552, v7
	s_delay_alu instid0(VALU_DEP_4) | instskip(NEXT) | instid1(VALU_DEP_4)
	v_sub_f32_e32 v2, v9, v6
	v_add_f32_e32 v3, v5, v12
	s_delay_alu instid0(VALU_DEP_4) | instskip(NEXT) | instid1(VALU_DEP_1)
	v_dual_add_f32 v7, v57, v37 :: v_dual_add_f32 v4, v4, v32
	v_dual_add_f32 v0, v8, v11 :: v_dual_add_f32 v7, v7, v33
	ds_store_2addr_b64 v22, v[0:1], v[2:3] offset0:2 offset1:3
	v_add_f32_e32 v0, v6, v9
	v_dual_sub_f32 v1, v12, v5 :: v_dual_sub_f32 v2, v11, v8
	v_add_f32_e32 v3, v10, v13
	v_dual_sub_f32 v5, v56, v36 :: v_dual_sub_f32 v8, v57, v37
	v_dual_sub_f32 v6, v32, v56 :: v_dual_sub_f32 v9, v33, v57
	ds_store_2addr_b64 v22, v[0:1], v[2:3] offset0:4 offset1:5
	v_dual_sub_f32 v0, v18, v20 :: v_dual_add_f32 v1, v21, v19
	v_dual_sub_f32 v2, v54, v34 :: v_dual_sub_f32 v3, v55, v35
	v_dual_mul_f32 v5, 0xbf08b237, v5 :: v_dual_mul_f32 v8, 0xbf08b237, v8
	ds_store_b64 v22, v[0:1] offset:48
	v_dual_sub_f32 v0, v30, v54 :: v_dual_sub_f32 v1, v31, v55
	v_dual_fmamk_f32 v12, v63, 0xbf955555, v40 :: v_dual_fmamk_f32 v13, v64, 0xbf955555, v41
	v_fmamk_f32 v16, v9, 0x3eae86e6, v8
	s_delay_alu instid0(VALU_DEP_3) | instskip(SKIP_2) | instid1(VALU_DEP_4)
	v_dual_mul_f32 v10, 0x3f4a47b2, v0 :: v_dual_mul_f32 v11, 0x3f4a47b2, v1
	v_fmamk_f32 v17, v6, 0x3eae86e6, v5
	v_mul_u32_u24_e32 v18, 7, v85
	v_fmac_f32_e32 v16, 0x3ee1c552, v7
	s_delay_alu instid0(VALU_DEP_4) | instskip(SKIP_1) | instid1(VALU_DEP_4)
	v_fmamk_f32 v0, v2, 0x3d64c772, v10
	v_mul_f32_e32 v2, 0x3d64c772, v2
	v_dual_fmac_f32 v17, 0x3ee1c552, v4 :: v_dual_lshlrev_b32 v20, 3, v18
	v_sub_f32_e32 v18, v36, v32
	s_delay_alu instid0(VALU_DEP_4) | instskip(SKIP_2) | instid1(VALU_DEP_4)
	v_add_f32_e32 v14, v0, v12
	v_dual_fmamk_f32 v0, v3, 0x3d64c772, v11 :: v_dual_sub_f32 v19, v37, v33
	v_mul_f32_e32 v3, 0x3d64c772, v3
	v_fma_f32 v5, 0x3f5ff5aa, v18, -v5
	s_clause 0x3
	scratch_store_b32 off, v65, off offset:264
	scratch_store_b32 off, v58, off offset:260
	;; [unrolled: 1-line block ×4, first 2 shown]
	v_dual_add_f32 v15, v0, v13 :: v_dual_add_f32 v0, v14, v16
	v_fmac_f32_e32 v5, 0x3ee1c552, v4
	s_delay_alu instid0(VALU_DEP_2) | instskip(SKIP_3) | instid1(VALU_DEP_2)
	v_sub_f32_e32 v1, v15, v17
	ds_store_2addr_b64 v20, v[40:41], v[0:1] offset1:1
	v_dual_sub_f32 v0, v34, v30 :: v_dual_sub_f32 v1, v35, v31
	v_and_b32_e32 v30, 0xff, v28
	v_fma_f32 v2, 0x3f3bfb3b, v0, -v2
	v_fma_f32 v0, 0xbf3bfb3b, v0, -v10
	v_mul_f32_e32 v10, 0xbf5ff5aa, v18
	v_fma_f32 v3, 0x3f3bfb3b, v1, -v3
	v_fma_f32 v1, 0xbf3bfb3b, v1, -v11
	s_delay_alu instid0(VALU_DEP_3) | instskip(SKIP_2) | instid1(VALU_DEP_3)
	v_dual_add_f32 v11, v0, v12 :: v_dual_fmac_f32 v10, 0xbeae86e6, v6
	v_fma_f32 v6, 0x3f5ff5aa, v19, -v8
	v_mul_f32_e32 v8, 0xbf5ff5aa, v19
	v_fmac_f32_e32 v10, 0x3ee1c552, v4
	s_delay_alu instid0(VALU_DEP_3) | instskip(NEXT) | instid1(VALU_DEP_3)
	v_fmac_f32_e32 v6, 0x3ee1c552, v7
	v_dual_fmac_f32 v8, 0xbeae86e6, v9 :: v_dual_add_f32 v9, v2, v12
	v_add_f32_e32 v12, v3, v13
	s_delay_alu instid0(VALU_DEP_2) | instskip(NEXT) | instid1(VALU_DEP_3)
	v_dual_add_f32 v13, v1, v13 :: v_dual_fmac_f32 v8, 0x3ee1c552, v7
	v_sub_f32_e32 v2, v9, v6
	s_delay_alu instid0(VALU_DEP_3) | instskip(NEXT) | instid1(VALU_DEP_3)
	v_add_f32_e32 v3, v5, v12
	v_dual_sub_f32 v1, v13, v10 :: v_dual_add_f32 v0, v8, v11
	ds_store_2addr_b64 v20, v[0:1], v[2:3] offset0:2 offset1:3
	v_add_f32_e32 v0, v6, v9
	v_dual_sub_f32 v1, v12, v5 :: v_dual_sub_f32 v2, v11, v8
	v_add_f32_e32 v3, v10, v13
	ds_store_2addr_b64 v20, v[0:1], v[2:3] offset0:4 offset1:5
	v_dual_sub_f32 v0, v14, v16 :: v_dual_add_f32 v1, v17, v15
	ds_store_b64 v20, v[0:1] offset:48
	v_and_b32_e32 v0, 0xffff, v29
	s_waitcnt lgkmcnt(0)
	s_waitcnt_vscnt null, 0x0
	s_barrier
	buffer_gl0_inv
	v_mul_u32_u24_e32 v0, 0x2493, v0
	s_delay_alu instid0(VALU_DEP_1) | instskip(NEXT) | instid1(VALU_DEP_1)
	v_lshrrev_b32_e32 v0, 16, v0
	v_sub_nc_u16 v1, v29, v0
	s_delay_alu instid0(VALU_DEP_1) | instskip(NEXT) | instid1(VALU_DEP_1)
	v_lshrrev_b16 v1, 1, v1
	v_add_nc_u16 v0, v1, v0
	v_mul_lo_u16 v1, v30, 37
	s_delay_alu instid0(VALU_DEP_2) | instskip(NEXT) | instid1(VALU_DEP_2)
	v_lshrrev_b16 v31, 2, v0
	v_lshrrev_b16 v1, 8, v1
	s_delay_alu instid0(VALU_DEP_1) | instskip(NEXT) | instid1(VALU_DEP_1)
	v_sub_nc_u16 v2, v28, v1
	v_lshrrev_b16 v2, 1, v2
	s_delay_alu instid0(VALU_DEP_1) | instskip(NEXT) | instid1(VALU_DEP_1)
	v_and_b32_e32 v2, 0x7f, v2
	v_add_nc_u16 v1, v2, v1
	s_delay_alu instid0(VALU_DEP_1) | instskip(SKIP_1) | instid1(VALU_DEP_2)
	v_lshrrev_b16 v0, 2, v1
	v_mul_lo_u16 v1, v31, 7
	v_mul_lo_u16 v2, v0, 7
	s_delay_alu instid0(VALU_DEP_2) | instskip(SKIP_1) | instid1(VALU_DEP_3)
	v_sub_nc_u16 v1, v29, v1
	v_and_b32_e32 v0, 0xffff, v0
	v_sub_nc_u16 v2, v28, v2
	s_delay_alu instid0(VALU_DEP_3) | instskip(NEXT) | instid1(VALU_DEP_3)
	v_mul_lo_u16 v3, v1, 24
	v_mul_u32_u24_e32 v0, 28, v0
	s_delay_alu instid0(VALU_DEP_3) | instskip(NEXT) | instid1(VALU_DEP_3)
	v_and_b32_e32 v2, 0xff, v2
	v_and_b32_e32 v3, 0xffff, v3
	s_delay_alu instid0(VALU_DEP_2) | instskip(NEXT) | instid1(VALU_DEP_2)
	v_mad_u64_u32 v[12:13], null, v2, 24, s[10:11]
	v_add_co_u32 v7, s2, s10, v3
	s_delay_alu instid0(VALU_DEP_1)
	v_add_co_ci_u32_e64 v8, null, s11, 0, s2
	ds_load_2addr_b64 v[3:6], v163 offset0:56 offset1:252
	v_add_lshl_u32 v0, v0, v2, 3
	s_clause 0x1
	global_load_b128 v[56:59], v[12:13], off
	global_load_b128 v[20:23], v[7:8], off
	s_waitcnt vmcnt(1) lgkmcnt(0)
	v_mul_f32_e32 v9, v4, v59
	v_mul_f32_e32 v17, v3, v59
	s_waitcnt vmcnt(0)
	v_mul_f32_e32 v19, v5, v23
	scratch_store_b128 off, v[20:23], off offset:244 ; 16-byte Folded Spill
	v_fma_f32 v16, v3, v58, -v9
	v_mul_f32_e32 v3, v6, v23
	v_fmac_f32_e32 v17, v4, v58
	v_fmac_f32_e32 v19, v6, v22
	s_delay_alu instid0(VALU_DEP_3) | instskip(SKIP_1) | instid1(VALU_DEP_1)
	v_fma_f32 v18, v5, v22, -v3
	v_and_b32_e32 v3, 0xffff, v84
	v_mul_u32_u24_e32 v3, 0x2493, v3
	s_delay_alu instid0(VALU_DEP_1) | instskip(NEXT) | instid1(VALU_DEP_1)
	v_lshrrev_b32_e32 v3, 16, v3
	v_sub_nc_u16 v4, v84, v3
	s_delay_alu instid0(VALU_DEP_1) | instskip(NEXT) | instid1(VALU_DEP_1)
	v_lshrrev_b16 v4, 1, v4
	v_add_nc_u16 v3, v4, v3
	s_delay_alu instid0(VALU_DEP_1) | instskip(NEXT) | instid1(VALU_DEP_1)
	v_lshrrev_b16 v26, 2, v3
	v_mul_lo_u16 v3, v26, 7
	s_delay_alu instid0(VALU_DEP_1) | instskip(NEXT) | instid1(VALU_DEP_1)
	v_sub_nc_u16 v27, v84, v3
	v_mul_lo_u16 v3, v27, 24
	s_delay_alu instid0(VALU_DEP_1) | instskip(NEXT) | instid1(VALU_DEP_1)
	v_and_b32_e32 v3, 0xffff, v3
	v_add_co_u32 v9, s2, s10, v3
	s_delay_alu instid0(VALU_DEP_1)
	v_add_co_ci_u32_e64 v10, null, s11, 0, s2
	ds_load_2addr_b64 v[3:6], v249 offset0:32 offset1:228
	s_clause 0x2
	global_load_b128 v[244:247], v[9:10], off
	global_load_b64 v[14:15], v[7:8], off offset:16
	global_load_b64 v[8:9], v[9:10], off offset:16
	ds_load_2addr_b64 v[49:52], v159 offset0:48 offset1:244
	s_clause 0x1
	scratch_store_b128 off, v[56:59], off offset:300
	scratch_store_b32 off, v0, off offset:344
	s_waitcnt lgkmcnt(1)
	v_mul_f32_e32 v11, v4, v21
	v_mul_f32_e32 v68, v3, v21
	s_delay_alu instid0(VALU_DEP_2) | instskip(SKIP_1) | instid1(VALU_DEP_2)
	v_fma_f32 v67, v3, v20, -v11
	s_waitcnt vmcnt(2)
	v_dual_fmac_f32 v68, v4, v20 :: v_dual_mul_f32 v3, v6, v245
	v_mul_f32_e32 v70, v5, v245
	s_waitcnt vmcnt(1)
	scratch_store_b64 off, v[14:15], off offset:276 ; 8-byte Folded Spill
	s_waitcnt vmcnt(0)
	scratch_store_b64 off, v[8:9], off offset:268 ; 8-byte Folded Spill
	v_fma_f32 v69, v5, v244, -v3
	v_fmac_f32_e32 v70, v6, v244
	ds_load_2addr_b64 v[3:6], v80 offset0:24 offset1:220
	s_waitcnt lgkmcnt(0)
	v_mul_f32_e32 v7, v4, v15
	v_mul_f32_e32 v72, v3, v15
	;; [unrolled: 1-line block ×3, first 2 shown]
	s_delay_alu instid0(VALU_DEP_3) | instskip(NEXT) | instid1(VALU_DEP_3)
	v_fma_f32 v71, v3, v14, -v7
	v_dual_mul_f32 v3, v6, v9 :: v_dual_fmac_f32 v72, v4, v14
	s_delay_alu instid0(VALU_DEP_3) | instskip(NEXT) | instid1(VALU_DEP_2)
	v_fmac_f32_e32 v74, v6, v8
	v_fma_f32 v73, v5, v8, -v3
	v_and_b32_e32 v3, 0xffff, v85
	s_delay_alu instid0(VALU_DEP_1) | instskip(NEXT) | instid1(VALU_DEP_1)
	v_mul_u32_u24_e32 v3, 0x2493, v3
	v_lshrrev_b32_e32 v3, 16, v3
	s_delay_alu instid0(VALU_DEP_1) | instskip(NEXT) | instid1(VALU_DEP_1)
	v_sub_nc_u16 v4, v85, v3
	v_lshrrev_b16 v4, 1, v4
	s_delay_alu instid0(VALU_DEP_1) | instskip(NEXT) | instid1(VALU_DEP_1)
	v_add_nc_u16 v3, v4, v3
	v_lshrrev_b16 v3, 2, v3
	s_delay_alu instid0(VALU_DEP_1) | instskip(NEXT) | instid1(VALU_DEP_1)
	v_mul_lo_u16 v4, v3, 7
	v_sub_nc_u16 v4, v85, v4
	s_delay_alu instid0(VALU_DEP_1) | instskip(SKIP_1) | instid1(VALU_DEP_2)
	v_mul_lo_u16 v5, v4, 24
	v_mad_u16 v4, v3, 28, v4
	v_and_b32_e32 v5, 0xffff, v5
	s_delay_alu instid0(VALU_DEP_2) | instskip(NEXT) | instid1(VALU_DEP_2)
	v_and_b32_e32 v4, 0xffff, v4
	v_add_co_u32 v14, s2, s10, v5
	s_delay_alu instid0(VALU_DEP_1)
	v_add_co_ci_u32_e64 v15, null, s11, 0, s2
	ds_load_2addr_b64 v[5:8], v158 offset1:196
	v_lshlrev_b32_e32 v4, 3, v4
	s_clause 0x1
	global_load_b128 v[250:253], v[14:15], off
	global_load_b64 v[22:23], v[14:15], off offset:16
	s_waitcnt lgkmcnt(0)
	v_mul_f32_e32 v9, v6, v247
	v_mul_f32_e32 v76, v5, v247
	s_delay_alu instid0(VALU_DEP_2) | instskip(SKIP_1) | instid1(VALU_DEP_2)
	v_fma_f32 v75, v5, v246, -v9
	s_waitcnt vmcnt(1)
	v_dual_fmac_f32 v76, v6, v246 :: v_dual_mul_f32 v5, v8, v253
	v_mul_f32_e32 v34, v7, v253
	s_delay_alu instid0(VALU_DEP_2) | instskip(SKIP_1) | instid1(VALU_DEP_3)
	v_fma_f32 v33, v7, v252, -v5
	v_and_b32_e32 v5, 0xffff, v88
	v_fmac_f32_e32 v34, v8, v252
	s_delay_alu instid0(VALU_DEP_2) | instskip(NEXT) | instid1(VALU_DEP_1)
	v_mul_u32_u24_e32 v5, 0x2493, v5
	v_lshrrev_b32_e32 v5, 16, v5
	s_delay_alu instid0(VALU_DEP_1) | instskip(NEXT) | instid1(VALU_DEP_1)
	v_sub_nc_u16 v6, v88, v5
	v_lshrrev_b16 v6, 1, v6
	s_delay_alu instid0(VALU_DEP_1) | instskip(NEXT) | instid1(VALU_DEP_1)
	v_add_nc_u16 v5, v6, v5
	v_lshrrev_b16 v5, 2, v5
	s_delay_alu instid0(VALU_DEP_1) | instskip(NEXT) | instid1(VALU_DEP_1)
	v_mul_lo_u16 v6, v5, 7
	v_sub_nc_u16 v6, v88, v6
	s_delay_alu instid0(VALU_DEP_1) | instskip(SKIP_1) | instid1(VALU_DEP_2)
	v_mul_lo_u16 v7, v6, 24
	v_mad_u16 v6, v5, 28, v6
	v_and_b32_e32 v7, 0xffff, v7
	s_delay_alu instid0(VALU_DEP_2) | instskip(NEXT) | instid1(VALU_DEP_2)
	v_and_b32_e32 v6, 0xffff, v6
	v_add_co_u32 v20, s2, s10, v7
	s_delay_alu instid0(VALU_DEP_1)
	v_add_co_ci_u32_e64 v21, null, s11, 0, s2
	ds_load_2addr_b64 v[7:10], v162 offset0:40 offset1:236
	v_lshlrev_b32_e32 v6, 3, v6
	s_clause 0x1
	global_load_b128 v[240:243], v[20:21], off
	global_load_b64 v[20:21], v[20:21], off offset:16
	s_waitcnt vmcnt(2)
	scratch_store_b64 off, v[22:23], off offset:292 ; 8-byte Folded Spill
	s_waitcnt lgkmcnt(0)
	v_mul_f32_e32 v11, v8, v251
	v_mul_f32_e32 v36, v7, v251
	s_delay_alu instid0(VALU_DEP_2) | instskip(SKIP_1) | instid1(VALU_DEP_2)
	v_fma_f32 v35, v7, v250, -v11
	s_waitcnt vmcnt(1)
	v_dual_fmac_f32 v36, v8, v250 :: v_dual_mul_f32 v7, v10, v241
	v_mul_f32_e32 v32, v9, v241
	s_waitcnt vmcnt(0)
	scratch_store_b64 off, v[20:21], off offset:284 ; 8-byte Folded Spill
	v_fma_f32 v11, v9, v240, -v7
	v_fmac_f32_e32 v32, v10, v240
	ds_load_2addr_b64 v[7:10], v156 offset0:32 offset1:228
	s_waitcnt lgkmcnt(0)
	v_mul_f32_e32 v14, v8, v23
	v_mul_f32_e32 v46, v7, v23
	;; [unrolled: 1-line block ×3, first 2 shown]
	s_delay_alu instid0(VALU_DEP_3) | instskip(NEXT) | instid1(VALU_DEP_3)
	v_fma_f32 v45, v7, v22, -v14
	v_dual_mul_f32 v7, v10, v21 :: v_dual_fmac_f32 v46, v8, v22
	ds_load_2addr_b64 v[22:25], v161 offset0:8 offset1:204
	v_fmac_f32_e32 v40, v10, v20
	v_fma_f32 v39, v9, v20, -v7
	v_and_b32_e32 v7, 0xffff, v92
	s_delay_alu instid0(VALU_DEP_1) | instskip(NEXT) | instid1(VALU_DEP_1)
	v_mul_u32_u24_e32 v7, 0x2493, v7
	v_lshrrev_b32_e32 v7, 16, v7
	s_delay_alu instid0(VALU_DEP_1) | instskip(SKIP_2) | instid1(VALU_DEP_2)
	v_sub_nc_u16 v8, v92, v7
	s_waitcnt lgkmcnt(0)
	v_mul_f32_e32 v48, v22, v243
	v_lshrrev_b16 v8, 1, v8
	s_delay_alu instid0(VALU_DEP_2) | instskip(NEXT) | instid1(VALU_DEP_2)
	v_fmac_f32_e32 v48, v23, v242
	v_add_nc_u16 v7, v8, v7
	s_delay_alu instid0(VALU_DEP_1) | instskip(NEXT) | instid1(VALU_DEP_1)
	v_lshrrev_b16 v7, 2, v7
	v_mul_lo_u16 v8, v7, 7
	s_delay_alu instid0(VALU_DEP_1) | instskip(NEXT) | instid1(VALU_DEP_1)
	v_sub_nc_u16 v8, v92, v8
	v_mul_lo_u16 v9, v8, 24
	v_mad_u16 v8, v7, 28, v8
	s_delay_alu instid0(VALU_DEP_2) | instskip(NEXT) | instid1(VALU_DEP_2)
	v_and_b32_e32 v9, 0xffff, v9
	v_and_b32_e32 v8, 0xffff, v8
	s_delay_alu instid0(VALU_DEP_2) | instskip(NEXT) | instid1(VALU_DEP_1)
	v_add_co_u32 v14, s2, s10, v9
	v_add_co_ci_u32_e64 v15, null, s11, 0, s2
	s_delay_alu instid0(VALU_DEP_3)
	v_dual_mul_f32 v9, v23, v243 :: v_dual_lshlrev_b32 v8, 3, v8
	global_load_b128 v[227:230], v[14:15], off
	v_fma_f32 v47, v22, v242, -v9
	global_load_b64 v[22:23], v[14:15], off offset:16
	s_waitcnt vmcnt(1)
	v_mul_f32_e32 v9, v25, v230
	v_mul_f32_e32 v38, v24, v230
	;; [unrolled: 1-line block ×3, first 2 shown]
	s_delay_alu instid0(VALU_DEP_3) | instskip(NEXT) | instid1(VALU_DEP_3)
	v_fma_f32 v37, v24, v229, -v9
	v_dual_fmac_f32 v38, v25, v229 :: v_dual_and_b32 v9, 0xffff, v96
	s_delay_alu instid0(VALU_DEP_3) | instskip(NEXT) | instid1(VALU_DEP_2)
	v_fmac_f32_e32 v44, v50, v227
	v_mul_u32_u24_e32 v9, 0x2493, v9
	s_delay_alu instid0(VALU_DEP_1) | instskip(NEXT) | instid1(VALU_DEP_1)
	v_lshrrev_b32_e32 v9, 16, v9
	v_sub_nc_u16 v10, v96, v9
	s_delay_alu instid0(VALU_DEP_1) | instskip(NEXT) | instid1(VALU_DEP_1)
	v_lshrrev_b16 v10, 1, v10
	v_add_nc_u16 v9, v10, v9
	s_delay_alu instid0(VALU_DEP_1) | instskip(NEXT) | instid1(VALU_DEP_1)
	v_lshrrev_b16 v9, 2, v9
	v_mul_lo_u16 v10, v9, 7
	s_delay_alu instid0(VALU_DEP_1) | instskip(NEXT) | instid1(VALU_DEP_1)
	v_sub_nc_u16 v10, v96, v10
	v_mul_lo_u16 v20, v10, 24
	s_delay_alu instid0(VALU_DEP_1) | instskip(NEXT) | instid1(VALU_DEP_1)
	v_and_b32_e32 v20, 0xffff, v20
	v_add_co_u32 v54, s2, s10, v20
	s_delay_alu instid0(VALU_DEP_1)
	v_add_co_ci_u32_e64 v55, null, s11, 0, s2
	v_mul_f32_e32 v20, v50, v228
	s_clause 0x1
	global_load_b128 v[223:226], v[54:55], off
	global_load_b64 v[24:25], v[54:55], off offset:16
	v_fma_f32 v43, v49, v227, -v20
	s_waitcnt vmcnt(2)
	scratch_store_b64 off, v[22:23], off offset:324 ; 8-byte Folded Spill
	s_waitcnt vmcnt(1)
	v_mul_f32_e32 v20, v52, v224
	v_mul_f32_e32 v42, v51, v224
	s_waitcnt vmcnt(0)
	scratch_store_b64 off, v[24:25], off offset:332 ; 8-byte Folded Spill
	v_fma_f32 v41, v51, v223, -v20
	global_load_b64 v[20:21], v[12:13], off offset:16
	v_fmac_f32_e32 v42, v52, v223
	ds_load_2addr_b64 v[50:53], v157 offset0:16 offset1:212
	s_waitcnt vmcnt(0) lgkmcnt(0)
	v_mul_f32_e32 v12, v53, v21
	v_mul_f32_e32 v13, v52, v21
	scratch_store_b64 off, v[20:21], off offset:316 ; 8-byte Folded Spill
	v_fma_f32 v12, v52, v20, -v12
	v_dual_fmac_f32 v13, v53, v20 :: v_dual_mul_f32 v20, v51, v226
	s_delay_alu instid0(VALU_DEP_1) | instskip(SKIP_1) | instid1(VALU_DEP_1)
	v_fma_f32 v49, v50, v225, -v20
	v_mul_f32_e32 v50, v50, v226
	v_fmac_f32_e32 v50, v51, v225
	ds_load_2addr_b64 v[51:54], v79 offset0:40 offset1:236
	s_waitcnt lgkmcnt(0)
	v_mul_f32_e32 v14, v52, v23
	v_mul_f32_e32 v21, v51, v23
	;; [unrolled: 1-line block ×3, first 2 shown]
	s_delay_alu instid0(VALU_DEP_3) | instskip(NEXT) | instid1(VALU_DEP_3)
	v_fma_f32 v20, v51, v22, -v14
	v_dual_mul_f32 v14, v54, v25 :: v_dual_fmac_f32 v21, v52, v22
	s_delay_alu instid0(VALU_DEP_3) | instskip(NEXT) | instid1(VALU_DEP_2)
	v_fmac_f32_e32 v23, v54, v24
	v_fma_f32 v22, v53, v24, -v14
	ds_load_2addr_b64 v[51:54], v237 offset0:24 offset1:220
	s_waitcnt lgkmcnt(0)
	v_mul_f32_e32 v14, v54, v57
	v_mul_f32_e32 v15, v53, v57
	s_delay_alu instid0(VALU_DEP_2) | instskip(NEXT) | instid1(VALU_DEP_2)
	v_fma_f32 v14, v53, v56, -v14
	v_fmac_f32_e32 v15, v54, v56
	ds_load_2addr_b64 v[53:56], v234 offset1:196
	ds_load_2addr_b64 v[57:60], v197 offset0:8 offset1:204
	ds_load_2addr_b64 v[61:64], v248 offset0:16 offset1:212
	s_waitcnt lgkmcnt(0)
	s_waitcnt_vscnt null, 0x0
	v_dual_sub_f32 v24, v14, v12 :: v_dual_sub_f32 v25, v15, v13
	s_barrier
	buffer_gl0_inv
	v_fma_f32 v12, v14, 2.0, -v24
	v_fma_f32 v13, v15, 2.0, -v25
	v_dual_sub_f32 v16, v53, v16 :: v_dual_sub_f32 v17, v54, v17
	v_sub_f32_e32 v2, v55, v18
	v_mad_u16 v18, v31, 28, v1
	s_delay_alu instid0(VALU_DEP_3) | instskip(NEXT) | instid1(VALU_DEP_4)
	v_fma_f32 v53, v53, 2.0, -v16
	v_fma_f32 v54, v54, 2.0, -v17
	v_dual_sub_f32 v14, v16, v25 :: v_dual_add_f32 v15, v17, v24
	s_delay_alu instid0(VALU_DEP_2) | instskip(NEXT) | instid1(VALU_DEP_2)
	v_dual_sub_f32 v12, v53, v12 :: v_dual_sub_f32 v13, v54, v13
	v_fma_f32 v65, v16, 2.0, -v14
	s_delay_alu instid0(VALU_DEP_3) | instskip(SKIP_1) | instid1(VALU_DEP_4)
	v_fma_f32 v66, v17, 2.0, -v15
	v_sub_f32_e32 v16, v56, v19
	v_fma_f32 v53, v53, 2.0, -v12
	v_fma_f32 v54, v54, 2.0, -v13
	ds_store_2addr_b64 v0, v[53:54], v[65:66] offset1:7
	ds_store_2addr_b64 v0, v[12:13], v[14:15] offset0:14 offset1:21
	v_dual_sub_f32 v15, v67, v71 :: v_dual_sub_f32 v14, v68, v72
	v_fma_f32 v0, v55, 2.0, -v2
	v_fma_f32 v17, v56, 2.0, -v16
	s_delay_alu instid0(VALU_DEP_3) | instskip(NEXT) | instid1(VALU_DEP_4)
	v_fma_f32 v12, v67, 2.0, -v15
	v_fma_f32 v13, v68, 2.0, -v14
	v_dual_sub_f32 v14, v2, v14 :: v_dual_add_f32 v15, v16, v15
	s_delay_alu instid0(VALU_DEP_2) | instskip(NEXT) | instid1(VALU_DEP_2)
	v_dual_sub_f32 v12, v0, v12 :: v_dual_sub_f32 v13, v17, v13
	v_fma_f32 v53, v2, 2.0, -v14
	v_and_b32_e32 v2, 0xffff, v18
	s_delay_alu instid0(VALU_DEP_4) | instskip(NEXT) | instid1(VALU_DEP_4)
	v_fma_f32 v54, v16, 2.0, -v15
	v_fma_f32 v0, v0, 2.0, -v12
	v_fma_f32 v1, v17, 2.0, -v13
	v_sub_f32_e32 v16, v57, v75
	v_dual_sub_f32 v17, v58, v76 :: v_dual_lshlrev_b32 v2, 3, v2
	scratch_store_b32 off, v2, off offset:340 ; 4-byte Folded Spill
	ds_store_2addr_b64 v2, v[0:1], v[53:54] offset1:7
	ds_store_2addr_b64 v2, v[12:13], v[14:15] offset0:14 offset1:21
	v_sub_f32_e32 v2, v69, v73
	v_sub_f32_e32 v12, v70, v74
	v_fma_f32 v14, v57, 2.0, -v16
	v_fma_f32 v15, v58, 2.0, -v17
	scratch_store_b32 off, v4, off offset:360 ; 4-byte Folded Spill
	v_fma_f32 v0, v69, 2.0, -v2
	v_fma_f32 v1, v70, 2.0, -v12
	v_add_f32_e32 v13, v17, v2
	v_mad_u16 v2, v26, 28, v27
	v_sub_f32_e32 v12, v16, v12
	s_delay_alu instid0(VALU_DEP_4) | instskip(NEXT) | instid1(VALU_DEP_4)
	v_dual_sub_f32 v0, v14, v0 :: v_dual_sub_f32 v1, v15, v1
	v_fma_f32 v54, v17, 2.0, -v13
	s_delay_alu instid0(VALU_DEP_4) | instskip(NEXT) | instid1(VALU_DEP_4)
	v_and_b32_e32 v2, 0xffff, v2
	v_fma_f32 v53, v16, 2.0, -v12
	s_delay_alu instid0(VALU_DEP_4) | instskip(SKIP_1) | instid1(VALU_DEP_4)
	v_fma_f32 v14, v14, 2.0, -v0
	v_fma_f32 v15, v15, 2.0, -v1
	v_lshlrev_b32_e32 v2, 3, v2
	ds_store_2addr_b64 v2, v[14:15], v[53:54] offset1:7
	ds_store_2addr_b64 v2, v[0:1], v[12:13] offset0:14 offset1:21
	v_dual_sub_f32 v14, v59, v33 :: v_dual_sub_f32 v15, v60, v34
	v_dual_sub_f32 v13, v35, v45 :: v_dual_sub_f32 v12, v36, v46
	scratch_store_b32 off, v2, off offset:364 ; 4-byte Folded Spill
	v_fma_f32 v2, v59, 2.0, -v14
	v_fma_f32 v16, v60, 2.0, -v15
	;; [unrolled: 1-line block ×4, first 2 shown]
	v_dual_sub_f32 v12, v14, v12 :: v_dual_add_f32 v13, v15, v13
	v_mov_b32_e32 v34, v163
	s_delay_alu instid0(VALU_DEP_3) | instskip(NEXT) | instid1(VALU_DEP_3)
	v_dual_sub_f32 v0, v2, v0 :: v_dual_sub_f32 v1, v16, v1
	v_fma_f32 v14, v14, 2.0, -v12
	s_delay_alu instid0(VALU_DEP_4) | instskip(SKIP_1) | instid1(VALU_DEP_4)
	v_fma_f32 v15, v15, 2.0, -v13
	v_mov_b32_e32 v33, v162
	v_fma_f32 v2, v2, 2.0, -v0
	v_fma_f32 v3, v16, 2.0, -v1
	ds_store_2addr_b64 v4, v[2:3], v[14:15] offset1:7
	ds_store_2addr_b64 v4, v[0:1], v[12:13] offset0:14 offset1:21
	v_dual_sub_f32 v3, v11, v39 :: v_dual_sub_f32 v2, v32, v40
	v_dual_sub_f32 v12, v61, v47 :: v_dual_sub_f32 v13, v62, v48
	scratch_store_b32 off, v6, off offset:356 ; 4-byte Folded Spill
	v_fma_f32 v0, v11, 2.0, -v3
	v_fma_f32 v1, v32, 2.0, -v2
	;; [unrolled: 1-line block ×4, first 2 shown]
	v_dual_sub_f32 v2, v12, v2 :: v_dual_add_f32 v3, v13, v3
	v_mov_b32_e32 v32, v80
	s_delay_alu instid0(VALU_DEP_3) | instskip(NEXT) | instid1(VALU_DEP_1)
	v_dual_sub_f32 v0, v4, v0 :: v_dual_sub_f32 v1, v11, v1
	v_fma_f32 v4, v4, 2.0, -v0
	s_delay_alu instid0(VALU_DEP_2)
	v_fma_f32 v5, v11, 2.0, -v1
	v_fma_f32 v11, v12, 2.0, -v2
	;; [unrolled: 1-line block ×3, first 2 shown]
	ds_store_2addr_b64 v6, v[4:5], v[11:12] offset1:7
	ds_store_2addr_b64 v6, v[0:1], v[2:3] offset0:14 offset1:21
	v_dual_sub_f32 v6, v63, v37 :: v_dual_sub_f32 v11, v64, v38
	v_dual_sub_f32 v3, v43, v20 :: v_dual_sub_f32 v2, v44, v21
	scratch_store_b32 off, v8, off offset:352 ; 4-byte Folded Spill
	v_fma_f32 v4, v63, 2.0, -v6
	v_fma_f32 v5, v64, 2.0, -v11
	;; [unrolled: 1-line block ×4, first 2 shown]
	v_dual_sub_f32 v2, v6, v2 :: v_dual_add_f32 v3, v11, v3
	s_delay_alu instid0(VALU_DEP_2) | instskip(NEXT) | instid1(VALU_DEP_2)
	v_dual_sub_f32 v0, v4, v0 :: v_dual_sub_f32 v1, v5, v1
	v_fma_f32 v6, v6, 2.0, -v2
	s_delay_alu instid0(VALU_DEP_3) | instskip(NEXT) | instid1(VALU_DEP_3)
	v_fma_f32 v7, v11, 2.0, -v3
	v_fma_f32 v4, v4, 2.0, -v0
	s_delay_alu instid0(VALU_DEP_4)
	v_fma_f32 v5, v5, 2.0, -v1
	ds_store_2addr_b64 v8, v[4:5], v[6:7] offset1:7
	ds_store_2addr_b64 v8, v[0:1], v[2:3] offset0:14 offset1:21
	v_dual_sub_f32 v6, v51, v49 :: v_dual_sub_f32 v7, v52, v50
	v_dual_sub_f32 v3, v41, v22 :: v_dual_sub_f32 v2, v42, v23
	v_mad_u16 v8, v9, 28, v10
	s_delay_alu instid0(VALU_DEP_3) | instskip(NEXT) | instid1(VALU_DEP_4)
	v_fma_f32 v4, v51, 2.0, -v6
	v_fma_f32 v5, v52, 2.0, -v7
	s_delay_alu instid0(VALU_DEP_4) | instskip(SKIP_3) | instid1(VALU_DEP_3)
	v_fma_f32 v0, v41, 2.0, -v3
	v_fma_f32 v1, v42, 2.0, -v2
	v_dual_sub_f32 v2, v6, v2 :: v_dual_add_f32 v3, v7, v3
	v_and_b32_e32 v8, 0xffff, v8
	v_dual_sub_f32 v0, v4, v0 :: v_dual_sub_f32 v1, v5, v1
	s_delay_alu instid0(VALU_DEP_3) | instskip(NEXT) | instid1(VALU_DEP_4)
	v_fma_f32 v6, v6, 2.0, -v2
	v_fma_f32 v7, v7, 2.0, -v3
	s_delay_alu instid0(VALU_DEP_4) | instskip(NEXT) | instid1(VALU_DEP_4)
	v_lshlrev_b32_e32 v8, 3, v8
	v_fma_f32 v4, v4, 2.0, -v0
	v_fma_f32 v5, v5, 2.0, -v1
	scratch_store_b32 off, v8, off offset:348 ; 4-byte Folded Spill
	ds_store_2addr_b64 v8, v[4:5], v[6:7] offset1:7
	ds_store_2addr_b64 v8, v[0:1], v[2:3] offset0:14 offset1:21
	v_lshrrev_b16 v1, 2, v29
	v_lshrrev_b16 v0, 2, v30
	s_waitcnt lgkmcnt(0)
	s_waitcnt_vscnt null, 0x0
	s_barrier
	buffer_gl0_inv
	v_and_b32_e32 v1, 0xffff, v1
	v_mul_lo_u16 v0, v0, 37
	ds_load_2addr_b64 v[9:12], v234 offset1:196
	v_mul_u32_u24_e32 v1, 0x4925, v1
	v_lshrrev_b16 v107, 8, v0
	s_delay_alu instid0(VALU_DEP_2) | instskip(NEXT) | instid1(VALU_DEP_2)
	v_lshrrev_b32_e32 v91, 17, v1
	v_mul_lo_u16 v0, v107, 28
	s_delay_alu instid0(VALU_DEP_2) | instskip(NEXT) | instid1(VALU_DEP_2)
	v_mul_lo_u16 v1, v91, 28
	v_sub_nc_u16 v0, v28, v0
	s_delay_alu instid0(VALU_DEP_2) | instskip(NEXT) | instid1(VALU_DEP_2)
	v_sub_nc_u16 v93, v29, v1
	v_and_b32_e32 v108, 0xff, v0
	s_delay_alu instid0(VALU_DEP_2) | instskip(NEXT) | instid1(VALU_DEP_2)
	v_mul_lo_u16 v0, v93, 48
	v_mad_u64_u32 v[6:7], null, v108, 48, s[10:11]
	s_delay_alu instid0(VALU_DEP_2) | instskip(SKIP_2) | instid1(VALU_DEP_1)
	v_and_b32_e32 v0, 0xffff, v0
	global_load_b128 v[215:218], v[6:7], off offset:168
	v_add_co_u32 v4, s2, s10, v0
	v_add_co_ci_u32_e64 v5, null, s11, 0, s2
	s_clause 0x1
	global_load_b128 v[68:71], v[6:7], off offset:184
	global_load_b128 v[60:63], v[6:7], off offset:200
	ds_load_2addr_b64 v[0:3], v248 offset0:16 offset1:212
	s_clause 0x2
	global_load_b128 v[72:75], v[4:5], off offset:168
	global_load_b128 v[64:67], v[4:5], off offset:184
	;; [unrolled: 1-line block ×3, first 2 shown]
	s_waitcnt vmcnt(5) lgkmcnt(0)
	v_mul_f32_e32 v8, v1, v216
	v_mul_f32_e32 v14, v0, v216
	s_delay_alu instid0(VALU_DEP_2) | instskip(NEXT) | instid1(VALU_DEP_2)
	v_fma_f32 v13, v0, v215, -v8
	v_fmac_f32_e32 v14, v1, v215
	s_waitcnt vmcnt(2)
	v_mul_f32_e32 v0, v3, v73
	v_mul_f32_e32 v110, v2, v73
	s_delay_alu instid0(VALU_DEP_2) | instskip(NEXT) | instid1(VALU_DEP_2)
	v_fma_f32 v112, v2, v72, -v0
	v_fmac_f32_e32 v110, v3, v72
	ds_load_2addr_b64 v[0:3], v249 offset0:32 offset1:228
	s_waitcnt lgkmcnt(0)
	v_mul_f32_e32 v8, v1, v218
	v_dual_mul_f32 v16, v0, v218 :: v_dual_mul_f32 v113, v2, v75
	s_delay_alu instid0(VALU_DEP_2) | instskip(SKIP_1) | instid1(VALU_DEP_3)
	v_fma_f32 v15, v0, v217, -v8
	v_mul_f32_e32 v0, v3, v75
	v_dual_fmac_f32 v16, v1, v217 :: v_dual_fmac_f32 v113, v3, v74
	s_delay_alu instid0(VALU_DEP_2)
	v_fma_f32 v114, v2, v74, -v0
	ds_load_2addr_b64 v[0:3], v159 offset0:48 offset1:244
	s_waitcnt lgkmcnt(0)
	v_mul_f32_e32 v8, v1, v69
	v_mul_f32_e32 v18, v0, v69
	s_waitcnt vmcnt(1)
	v_mul_f32_e32 v115, v2, v65
	s_delay_alu instid0(VALU_DEP_3) | instskip(SKIP_2) | instid1(VALU_DEP_4)
	v_fma_f32 v17, v0, v68, -v8
	v_mul_f32_e32 v0, v3, v65
	v_fmac_f32_e32 v18, v1, v68
	v_fmac_f32_e32 v115, v3, v64
	s_delay_alu instid0(VALU_DEP_3)
	v_fma_f32 v117, v2, v64, -v0
	ds_load_2addr_b64 v[0:3], v158 offset1:196
	s_waitcnt lgkmcnt(0)
	v_mul_f32_e32 v8, v1, v71
	v_mul_f32_e32 v20, v0, v71
	;; [unrolled: 1-line block ×3, first 2 shown]
	s_delay_alu instid0(VALU_DEP_3) | instskip(SKIP_1) | instid1(VALU_DEP_4)
	v_fma_f32 v19, v0, v70, -v8
	v_mul_f32_e32 v0, v3, v67
	v_fmac_f32_e32 v20, v1, v70
	s_delay_alu instid0(VALU_DEP_4) | instskip(NEXT) | instid1(VALU_DEP_3)
	v_fmac_f32_e32 v121, v3, v66
	v_fma_f32 v122, v2, v66, -v0
	ds_load_2addr_b64 v[0:3], v157 offset0:16 offset1:212
	s_waitcnt lgkmcnt(0)
	v_mul_f32_e32 v6, v1, v61
	s_waitcnt vmcnt(0)
	v_dual_mul_f32 v22, v0, v61 :: v_dual_mul_f32 v125, v2, v172
	s_delay_alu instid0(VALU_DEP_2) | instskip(SKIP_1) | instid1(VALU_DEP_3)
	v_fma_f32 v21, v0, v60, -v6
	v_mul_f32_e32 v0, v3, v172
	v_dual_fmac_f32 v22, v1, v60 :: v_dual_fmac_f32 v125, v3, v171
	s_delay_alu instid0(VALU_DEP_3) | instskip(NEXT) | instid1(VALU_DEP_3)
	v_add_f32_e32 v149, v15, v21
	v_fma_f32 v126, v2, v171, -v0
	ds_load_2addr_b64 v[0:3], v156 offset0:32 offset1:228
	v_add_f32_e32 v29, v16, v22
	s_waitcnt lgkmcnt(0)
	v_dual_add_f32 v221, v114, v126 :: v_dual_mul_f32 v4, v1, v63
	v_dual_mul_f32 v24, v0, v63 :: v_dual_mul_f32 v129, v2, v174
	s_delay_alu instid0(VALU_DEP_2) | instskip(SKIP_1) | instid1(VALU_DEP_3)
	v_fma_f32 v23, v0, v62, -v4
	v_mul_f32_e32 v0, v3, v174
	v_dual_fmac_f32 v24, v1, v62 :: v_dual_fmac_f32 v129, v3, v173
	s_delay_alu instid0(VALU_DEP_3) | instskip(NEXT) | instid1(VALU_DEP_3)
	v_add_f32_e32 v148, v13, v23
	v_fma_f32 v130, v2, v173, -v0
	v_lshrrev_b16 v0, 2, v84
	s_delay_alu instid0(VALU_DEP_2) | instskip(NEXT) | instid1(VALU_DEP_2)
	v_dual_add_f32 v222, v14, v24 :: v_dual_add_f32 v147, v112, v130
	v_and_b32_e32 v87, 0xffff, v0
	v_lshrrev_b16 v0, 2, v85
	s_delay_alu instid0(VALU_DEP_1) | instskip(NEXT) | instid1(VALU_DEP_3)
	v_and_b32_e32 v86, 0xffff, v0
	v_mul_u32_u24_e32 v0, 0x4925, v87
	s_delay_alu instid0(VALU_DEP_1) | instskip(NEXT) | instid1(VALU_DEP_3)
	v_lshrrev_b32_e32 v109, 17, v0
	v_mul_u32_u24_e32 v0, 0x4925, v86
	s_delay_alu instid0(VALU_DEP_1) | instskip(NEXT) | instid1(VALU_DEP_3)
	v_lshrrev_b32_e32 v89, 17, v0
	v_mul_lo_u16 v0, v109, 28
	s_delay_alu instid0(VALU_DEP_1) | instskip(NEXT) | instid1(VALU_DEP_3)
	v_sub_nc_u16 v111, v84, v0
	v_mul_lo_u16 v0, v89, 28
	s_delay_alu instid0(VALU_DEP_1) | instskip(NEXT) | instid1(VALU_DEP_3)
	v_sub_nc_u16 v90, v85, v0
	v_mul_lo_u16 v0, v111, 48
	s_delay_alu instid0(VALU_DEP_2) | instskip(NEXT) | instid1(VALU_DEP_2)
	v_mul_lo_u16 v1, v90, 48
	v_and_b32_e32 v0, 0xffff, v0
	s_delay_alu instid0(VALU_DEP_2) | instskip(NEXT) | instid1(VALU_DEP_2)
	v_and_b32_e32 v1, 0xffff, v1
	v_add_co_u32 v4, s2, s10, v0
	s_delay_alu instid0(VALU_DEP_1) | instskip(NEXT) | instid1(VALU_DEP_3)
	v_add_co_ci_u32_e64 v5, null, s11, 0, s2
	v_add_co_u32 v6, s2, s10, v1
	s_delay_alu instid0(VALU_DEP_1)
	v_add_co_ci_u32_e64 v7, null, s11, 0, s2
	s_clause 0x5
	global_load_b128 v[181:184], v[4:5], off offset:168
	global_load_b128 v[185:188], v[4:5], off offset:184
	;; [unrolled: 1-line block ×6, first 2 shown]
	ds_load_2addr_b64 v[0:3], v237 offset0:24 offset1:220
	v_add_f32_e32 v6, v18, v20
	s_waitcnt vmcnt(5) lgkmcnt(0)
	v_mul_f32_e32 v8, v1, v182
	v_mul_f32_e32 v116, v0, v182
	s_waitcnt vmcnt(2)
	v_mul_f32_e32 v94, v2, v194
	s_delay_alu instid0(VALU_DEP_3) | instskip(SKIP_2) | instid1(VALU_DEP_4)
	v_fma_f32 v118, v0, v181, -v8
	v_mul_f32_e32 v0, v3, v194
	v_fmac_f32_e32 v116, v1, v181
	v_fmac_f32_e32 v94, v3, v193
	s_delay_alu instid0(VALU_DEP_3)
	v_fma_f32 v95, v2, v193, -v0
	ds_load_2addr_b64 v[0:3], v162 offset0:40 offset1:236
	s_waitcnt lgkmcnt(0)
	v_mul_f32_e32 v8, v1, v184
	v_mul_f32_e32 v119, v0, v184
	v_mul_f32_e32 v97, v2, v196
	s_delay_alu instid0(VALU_DEP_3) | instskip(NEXT) | instid1(VALU_DEP_3)
	v_fma_f32 v120, v0, v183, -v8
	v_dual_mul_f32 v0, v3, v196 :: v_dual_fmac_f32 v119, v1, v183
	s_delay_alu instid0(VALU_DEP_3) | instskip(NEXT) | instid1(VALU_DEP_2)
	v_fmac_f32_e32 v97, v3, v195
	v_fma_f32 v98, v2, v195, -v0
	ds_load_2addr_b64 v[0:3], v163 offset0:56 offset1:252
	s_waitcnt lgkmcnt(0)
	v_mul_f32_e32 v8, v1, v186
	v_mul_f32_e32 v123, v0, v186
	s_waitcnt vmcnt(1)
	v_mul_f32_e32 v99, v2, v212
	s_delay_alu instid0(VALU_DEP_3) | instskip(NEXT) | instid1(VALU_DEP_3)
	v_fma_f32 v124, v0, v185, -v8
	v_dual_mul_f32 v0, v3, v212 :: v_dual_fmac_f32 v123, v1, v185
	s_delay_alu instid0(VALU_DEP_3) | instskip(NEXT) | instid1(VALU_DEP_2)
	v_fmac_f32_e32 v99, v3, v211
	v_fma_f32 v100, v2, v211, -v0
	ds_load_2addr_b64 v[0:3], v161 offset0:8 offset1:204
	s_waitcnt lgkmcnt(0)
	v_mul_f32_e32 v8, v1, v188
	v_mul_f32_e32 v127, v0, v188
	v_mul_f32_e32 v101, v2, v214
	s_delay_alu instid0(VALU_DEP_3) | instskip(NEXT) | instid1(VALU_DEP_3)
	v_fma_f32 v128, v0, v187, -v8
	v_dual_mul_f32 v0, v3, v214 :: v_dual_fmac_f32 v127, v1, v187
	s_delay_alu instid0(VALU_DEP_3) | instskip(NEXT) | instid1(VALU_DEP_2)
	v_fmac_f32_e32 v101, v3, v213
	v_fma_f32 v102, v2, v213, -v0
	ds_load_2addr_b64 v[0:3], v80 offset0:24 offset1:220
	v_dual_add_f32 v144, v99, v101 :: v_dual_add_f32 v143, v100, v102
	s_waitcnt lgkmcnt(0)
	v_mul_f32_e32 v4, v1, v208
	v_mul_f32_e32 v131, v0, v208
	s_waitcnt vmcnt(0)
	v_mul_f32_e32 v103, v2, v204
	s_delay_alu instid0(VALU_DEP_3) | instskip(NEXT) | instid1(VALU_DEP_3)
	v_fma_f32 v132, v0, v207, -v4
	v_dual_mul_f32 v0, v3, v204 :: v_dual_fmac_f32 v131, v1, v207
	s_delay_alu instid0(VALU_DEP_2) | instskip(NEXT) | instid1(VALU_DEP_2)
	v_dual_fmac_f32 v103, v3, v203 :: v_dual_add_f32 v136, v120, v132
	v_fma_f32 v104, v2, v203, -v0
	ds_load_2addr_b64 v[0:3], v79 offset0:40 offset1:236
	v_add_f32_e32 v142, v97, v103
	v_mov_b32_e32 v36, v79
	v_add_f32_e32 v140, v119, v131
	v_add_f32_e32 v138, v98, v104
	;; [unrolled: 1-line block ×3, first 2 shown]
	s_waitcnt lgkmcnt(0)
	v_mul_f32_e32 v4, v1, v210
	v_mul_f32_e32 v133, v0, v210
	;; [unrolled: 1-line block ×3, first 2 shown]
	s_delay_alu instid0(VALU_DEP_3) | instskip(SKIP_1) | instid1(VALU_DEP_3)
	v_fma_f32 v134, v0, v209, -v4
	v_mul_f32_e32 v0, v3, v206
	v_fmac_f32_e32 v105, v3, v205
	v_fmac_f32_e32 v133, v1, v209
	v_add_f32_e32 v1, v113, v125
	v_add_f32_e32 v135, v118, v134
	v_fma_f32 v106, v2, v205, -v0
	v_add_f32_e32 v0, v149, v148
	v_dual_add_f32 v2, v117, v122 :: v_dual_add_f32 v141, v94, v105
	v_add_f32_e32 v150, v115, v121
	s_delay_alu instid0(VALU_DEP_3) | instskip(SKIP_2) | instid1(VALU_DEP_3)
	v_dual_add_f32 v137, v95, v106 :: v_dual_add_f32 v152, v154, v0
	v_add_f32_e32 v0, v29, v222
	v_add_f32_e32 v4, v136, v135
	v_dual_add_f32 v139, v116, v133 :: v_dual_add_f32 v82, v9, v152
	s_delay_alu instid0(VALU_DEP_3) | instskip(SKIP_1) | instid1(VALU_DEP_3)
	v_add_f32_e32 v8, v6, v0
	v_dual_add_f32 v0, v221, v147 :: v_dual_add_f32 v9, v138, v137
	v_add_f32_e32 v7, v140, v139
	s_delay_alu instid0(VALU_DEP_3) | instskip(NEXT) | instid1(VALU_DEP_3)
	v_add_f32_e32 v83, v10, v8
	v_add_f32_e32 v151, v2, v0
	;; [unrolled: 1-line block ×4, first 2 shown]
	s_delay_alu instid0(VALU_DEP_3) | instskip(NEXT) | instid1(VALU_DEP_1)
	v_dual_add_f32 v9, v142, v141 :: v_dual_add_f32 v78, v11, v151
	v_dual_add_f32 v3, v1, v0 :: v_dual_add_f32 v146, v144, v9
	s_delay_alu instid0(VALU_DEP_1) | instskip(NEXT) | instid1(VALU_DEP_1)
	v_dual_add_f32 v30, v150, v3 :: v_dual_add_f32 v3, v124, v128
	v_add_f32_e32 v79, v12, v30
	ds_load_2addr_b64 v[9:12], v197 offset0:8 offset1:204
	v_add_f32_e32 v5, v3, v4
	v_add_f32_e32 v4, v123, v127
	s_waitcnt lgkmcnt(0)
	s_barrier
	buffer_gl0_inv
	v_add_f32_e32 v7, v4, v7
	s_delay_alu instid0(VALU_DEP_1)
	v_dual_add_f32 v81, v10, v7 :: v_dual_add_f32 v76, v11, v145
	v_dual_sub_f32 v10, v13, v23 :: v_dual_sub_f32 v11, v14, v24
	v_sub_f32_e32 v13, v16, v22
	v_sub_f32_e32 v14, v20, v18
	v_add_f32_e32 v80, v9, v5
	v_sub_f32_e32 v9, v19, v17
	v_fmamk_f32 v17, v8, 0xbf955555, v83
	s_delay_alu instid0(VALU_DEP_4) | instskip(SKIP_2) | instid1(VALU_DEP_3)
	v_dual_add_f32 v77, v12, v146 :: v_dual_sub_f32 v8, v14, v13
	v_dual_sub_f32 v12, v15, v21 :: v_dual_and_b32 v15, 0xffff, v107
	v_sub_f32_e32 v19, v154, v149
	v_dual_sub_f32 v21, v6, v29 :: v_dual_mul_f32 v18, 0xbf08b237, v8
	v_sub_f32_e32 v8, v148, v154
	s_delay_alu instid0(VALU_DEP_4)
	v_mul_u32_u24_e32 v15, 0xc4, v15
	v_sub_f32_e32 v6, v222, v6
	v_fmamk_f32 v16, v152, 0xbf955555, v82
	v_add_f32_e32 v20, v14, v13
	v_mul_f32_e32 v22, 0x3f4a47b2, v8
	v_sub_f32_e32 v8, v9, v12
	v_add_lshl_u32 v31, v15, v108, 3
	v_dual_add_f32 v15, v9, v12 :: v_dual_sub_f32 v24, v10, v9
	s_delay_alu instid0(VALU_DEP_3) | instskip(SKIP_2) | instid1(VALU_DEP_4)
	v_dual_sub_f32 v14, v11, v14 :: v_dual_mul_f32 v23, 0xbf08b237, v8
	v_mul_f32_e32 v6, 0x3f4a47b2, v6
	v_fmamk_f32 v8, v19, 0x3d64c772, v22
	v_dual_add_f32 v15, v15, v10 :: v_dual_add_f32 v20, v20, v11
	s_delay_alu instid0(VALU_DEP_4) | instskip(NEXT) | instid1(VALU_DEP_3)
	v_dual_fmamk_f32 v27, v14, 0x3eae86e6, v18 :: v_dual_fmamk_f32 v28, v24, 0x3eae86e6, v23
	v_dual_add_f32 v25, v8, v16 :: v_dual_fmamk_f32 v8, v21, 0x3d64c772, v6
	s_delay_alu instid0(VALU_DEP_2) | instskip(NEXT) | instid1(VALU_DEP_3)
	v_dual_sub_f32 v10, v12, v10 :: v_dual_fmac_f32 v27, 0x3ee1c552, v20
	v_fmac_f32_e32 v28, 0x3ee1c552, v15
	s_delay_alu instid0(VALU_DEP_3) | instskip(SKIP_1) | instid1(VALU_DEP_4)
	v_dual_sub_f32 v11, v13, v11 :: v_dual_add_f32 v26, v8, v17
	v_mul_f32_e32 v12, 0x3d64c772, v19
	v_add_f32_e32 v8, v27, v25
	v_mul_f32_e32 v13, 0x3d64c772, v21
	s_delay_alu instid0(VALU_DEP_4)
	v_mul_f32_e32 v19, 0xbf5ff5aa, v11
	v_sub_f32_e32 v9, v26, v28
	v_mul_f32_e32 v21, 0xbf5ff5aa, v10
	v_fma_f32 v18, 0x3f5ff5aa, v11, -v18
	v_fmamk_f32 v5, v5, 0xbf955555, v80
	v_fmac_f32_e32 v19, 0xbeae86e6, v14
	ds_store_2addr_b64 v31, v[82:83], v[8:9] offset1:28
	v_sub_f32_e32 v8, v149, v148
	v_sub_f32_e32 v9, v29, v222
	v_fma_f32 v14, 0x3f5ff5aa, v10, -v23
	v_fmac_f32_e32 v21, 0xbeae86e6, v24
	v_fmac_f32_e32 v18, 0x3ee1c552, v20
	v_fma_f32 v12, 0x3f3bfb3b, v8, -v12
	v_fma_f32 v8, 0xbf3bfb3b, v8, -v22
	;; [unrolled: 1-line block ×4, first 2 shown]
	v_fmac_f32_e32 v19, 0x3ee1c552, v20
	v_add_f32_e32 v12, v12, v16
	s_delay_alu instid0(VALU_DEP_4) | instskip(NEXT) | instid1(VALU_DEP_4)
	v_dual_add_f32 v16, v8, v16 :: v_dual_add_f32 v13, v13, v17
	v_add_f32_e32 v6, v6, v17
	v_fmac_f32_e32 v14, 0x3ee1c552, v15
	s_delay_alu instid0(VALU_DEP_4) | instskip(NEXT) | instid1(VALU_DEP_4)
	v_dual_fmac_f32 v21, 0x3ee1c552, v15 :: v_dual_sub_f32 v8, v12, v18
	v_add_f32_e32 v10, v19, v16
	v_fmamk_f32 v15, v151, 0xbf955555, v78
	s_delay_alu instid0(VALU_DEP_4) | instskip(NEXT) | instid1(VALU_DEP_4)
	v_add_f32_e32 v9, v14, v13
	v_sub_f32_e32 v11, v6, v21
	v_dual_sub_f32 v20, v150, v1 :: v_dual_fmamk_f32 v7, v7, 0xbf955555, v81
	scratch_store_b32 off, v31, off offset:416 ; 4-byte Folded Spill
	ds_store_2addr_b64 v31, v[10:11], v[8:9] offset0:56 offset1:84
	v_dual_add_f32 v8, v18, v12 :: v_dual_sub_f32 v9, v13, v14
	v_dual_sub_f32 v10, v16, v19 :: v_dual_add_f32 v11, v21, v6
	v_mad_u16 v13, 0xc4, v91, v93
	v_sub_f32_e32 v12, v113, v125
	v_sub_f32_e32 v18, v2, v221
	;; [unrolled: 1-line block ×3, first 2 shown]
	ds_store_2addr_b64 v31, v[8:9], v[10:11] offset0:112 offset1:140
	v_dual_sub_f32 v8, v25, v27 :: v_dual_add_f32 v9, v28, v26
	v_dual_sub_f32 v10, v114, v126 :: v_dual_and_b32 v13, 0xffff, v13
	v_sub_f32_e32 v6, v112, v130
	v_sub_f32_e32 v21, v0, v150
	ds_store_b64 v31, v[8:9] offset:1344
	v_dual_sub_f32 v8, v122, v117 :: v_dual_sub_f32 v9, v121, v115
	v_dual_mul_f32 v2, 0x3f4a47b2, v2 :: v_dual_lshlrev_b32 v233, 3, v13
	s_delay_alu instid0(VALU_DEP_2) | instskip(NEXT) | instid1(VALU_DEP_3)
	v_dual_sub_f32 v11, v110, v129 :: v_dual_sub_f32 v22, v8, v10
	v_dual_sub_f32 v17, v9, v12 :: v_dual_add_f32 v14, v8, v10
	v_add_f32_e32 v19, v9, v12
	s_delay_alu instid0(VALU_DEP_3) | instskip(NEXT) | instid1(VALU_DEP_3)
	v_dual_sub_f32 v23, v6, v8 :: v_dual_mul_f32 v22, 0xbf08b237, v22
	v_mul_f32_e32 v17, 0xbf08b237, v17
	v_sub_f32_e32 v24, v11, v9
	v_mul_f32_e32 v21, 0x3f4a47b2, v21
	v_fmamk_f32 v8, v18, 0x3d64c772, v2
	v_add_f32_e32 v14, v14, v6
	v_dual_fmamk_f32 v16, v30, 0xbf955555, v79 :: v_dual_add_f32 v19, v19, v11
	v_fmamk_f32 v27, v24, 0x3eae86e6, v17
	s_delay_alu instid0(VALU_DEP_4) | instskip(SKIP_2) | instid1(VALU_DEP_4)
	v_add_f32_e32 v25, v8, v15
	v_fmamk_f32 v8, v20, 0x3d64c772, v21
	v_fmamk_f32 v28, v23, 0x3eae86e6, v22
	v_dual_sub_f32 v0, v1, v0 :: v_dual_fmac_f32 v27, 0x3ee1c552, v19
	s_delay_alu instid0(VALU_DEP_3) | instskip(NEXT) | instid1(VALU_DEP_3)
	v_dual_sub_f32 v1, v10, v6 :: v_dual_add_f32 v26, v8, v16
	v_fmac_f32_e32 v28, 0x3ee1c552, v14
	v_sub_f32_e32 v6, v12, v11
	s_delay_alu instid0(VALU_DEP_4) | instskip(NEXT) | instid1(VALU_DEP_4)
	v_add_f32_e32 v8, v27, v25
	v_mul_f32_e32 v12, 0xbf5ff5aa, v1
	v_fma_f32 v11, 0x3f5ff5aa, v1, -v22
	v_sub_f32_e32 v9, v26, v28
	v_fma_f32 v10, 0x3f5ff5aa, v6, -v17
	v_mul_f32_e32 v6, 0xbf5ff5aa, v6
	v_fmac_f32_e32 v12, 0xbeae86e6, v23
	v_fmac_f32_e32 v11, 0x3ee1c552, v14
	ds_store_2addr_b64 v233, v[78:79], v[8:9] offset1:28
	v_dual_sub_f32 v8, v221, v147 :: v_dual_mul_f32 v9, 0x3d64c772, v18
	v_fmac_f32_e32 v6, 0xbeae86e6, v24
	v_fmac_f32_e32 v10, 0x3ee1c552, v19
	;; [unrolled: 1-line block ×3, first 2 shown]
	s_delay_alu instid0(VALU_DEP_4) | instskip(SKIP_3) | instid1(VALU_DEP_4)
	v_fma_f32 v2, 0xbf3bfb3b, v8, -v2
	v_fma_f32 v9, 0x3f3bfb3b, v8, -v9
	v_mul_f32_e32 v8, 0x3d64c772, v20
	v_fmac_f32_e32 v6, 0x3ee1c552, v19
	v_add_f32_e32 v2, v2, v15
	s_delay_alu instid0(VALU_DEP_4) | instskip(NEXT) | instid1(VALU_DEP_4)
	v_add_f32_e32 v13, v9, v15
	v_fma_f32 v8, 0x3f3bfb3b, v0, -v8
	v_fma_f32 v0, 0xbf3bfb3b, v0, -v21
	s_delay_alu instid0(VALU_DEP_2) | instskip(NEXT) | instid1(VALU_DEP_2)
	v_add_f32_e32 v15, v8, v16
	v_add_f32_e32 v16, v0, v16
	v_sub_f32_e32 v0, v13, v10
	s_delay_alu instid0(VALU_DEP_3) | instskip(NEXT) | instid1(VALU_DEP_3)
	v_dual_add_f32 v8, v6, v2 :: v_dual_add_f32 v1, v11, v15
	v_sub_f32_e32 v9, v16, v12
	ds_store_2addr_b64 v233, v[8:9], v[0:1] offset0:56 offset1:84
	v_dual_add_f32 v0, v10, v13 :: v_dual_sub_f32 v1, v15, v11
	v_dual_sub_f32 v8, v2, v6 :: v_dual_add_f32 v9, v12, v16
	v_sub_f32_e32 v6, v120, v132
	v_sub_f32_e32 v13, v3, v136
	v_dual_sub_f32 v3, v135, v3 :: v_dual_sub_f32 v2, v118, v134
	ds_store_2addr_b64 v233, v[0:1], v[8:9] offset0:112 offset1:140
	v_dual_sub_f32 v0, v25, v27 :: v_dual_add_f32 v1, v28, v26
	v_dual_sub_f32 v9, v119, v131 :: v_dual_sub_f32 v8, v116, v133
	v_sub_f32_e32 v15, v4, v140
	v_sub_f32_e32 v4, v139, v4
	ds_store_b64 v233, v[0:1] offset:1344
	v_dual_sub_f32 v0, v128, v124 :: v_dual_sub_f32 v1, v127, v123
	v_dual_mul_f32 v3, 0x3f4a47b2, v3 :: v_dual_mul_f32 v4, 0x3f4a47b2, v4
	v_mad_u16 v10, 0xc4, v109, v111
	s_delay_alu instid0(VALU_DEP_3) | instskip(NEXT) | instid1(VALU_DEP_4)
	v_sub_f32_e32 v16, v0, v6
	v_dual_sub_f32 v12, v1, v9 :: v_dual_add_f32 v11, v0, v6
	v_dual_add_f32 v14, v1, v9 :: v_dual_sub_f32 v17, v2, v0
	s_delay_alu instid0(VALU_DEP_3) | instskip(NEXT) | instid1(VALU_DEP_3)
	v_mul_f32_e32 v16, 0xbf08b237, v16
	v_mul_f32_e32 v12, 0xbf08b237, v12
	v_sub_f32_e32 v18, v8, v1
	v_dual_fmamk_f32 v0, v13, 0x3d64c772, v3 :: v_dual_add_f32 v11, v11, v2
	v_add_f32_e32 v14, v14, v8
	v_fmamk_f32 v22, v17, 0x3eae86e6, v16
	s_delay_alu instid0(VALU_DEP_4) | instskip(NEXT) | instid1(VALU_DEP_4)
	v_fmamk_f32 v21, v18, 0x3eae86e6, v12
	v_dual_add_f32 v19, v0, v5 :: v_dual_fmamk_f32 v0, v15, 0x3d64c772, v4
	v_and_b32_e32 v10, 0xffff, v10
	s_delay_alu instid0(VALU_DEP_3) | instskip(SKIP_1) | instid1(VALU_DEP_3)
	v_dual_fmac_f32 v22, 0x3ee1c552, v11 :: v_dual_fmac_f32 v21, 0x3ee1c552, v14
	v_sub_f32_e32 v2, v6, v2
	v_dual_add_f32 v20, v0, v7 :: v_dual_lshlrev_b32 v201, 3, v10
	v_sub_f32_e32 v6, v9, v8
	s_delay_alu instid0(VALU_DEP_4) | instskip(NEXT) | instid1(VALU_DEP_3)
	v_add_f32_e32 v0, v21, v19
	v_dual_mul_f32 v8, 0x3d64c772, v13 :: v_dual_sub_f32 v1, v20, v22
	v_mul_f32_e32 v10, 0xbf5ff5aa, v2
	v_fma_f32 v9, 0x3f5ff5aa, v2, -v16
	v_mad_u64_u32 v[132:133], null, v155, 48, s[10:11]
	ds_store_2addr_b64 v201, v[80:81], v[0:1] offset1:28
	v_sub_f32_e32 v0, v136, v135
	v_dual_sub_f32 v1, v140, v139 :: v_dual_fmac_f32 v10, 0xbeae86e6, v17
	v_fmac_f32_e32 v9, 0x3ee1c552, v11
	s_delay_alu instid0(VALU_DEP_3) | instskip(SKIP_3) | instid1(VALU_DEP_4)
	v_fma_f32 v8, 0x3f3bfb3b, v0, -v8
	v_fma_f32 v0, 0xbf3bfb3b, v0, -v3
	v_mul_f32_e32 v3, 0x3d64c772, v15
	v_dual_fmac_f32 v10, 0x3ee1c552, v11 :: v_dual_sub_f32 v11, v143, v138
	v_add_f32_e32 v8, v8, v5
	s_delay_alu instid0(VALU_DEP_4) | instskip(NEXT) | instid1(VALU_DEP_4)
	v_add_f32_e32 v5, v0, v5
	v_fma_f32 v3, 0x3f3bfb3b, v1, -v3
	v_fma_f32 v1, 0xbf3bfb3b, v1, -v4
	;; [unrolled: 1-line block ×3, first 2 shown]
	v_dual_mul_f32 v6, 0xbf5ff5aa, v6 :: v_dual_sub_f32 v15, v141, v144
	s_delay_alu instid0(VALU_DEP_4) | instskip(NEXT) | instid1(VALU_DEP_3)
	v_add_f32_e32 v12, v3, v7
	v_dual_add_f32 v7, v1, v7 :: v_dual_fmac_f32 v4, 0x3ee1c552, v14
	s_delay_alu instid0(VALU_DEP_3) | instskip(NEXT) | instid1(VALU_DEP_4)
	v_fmac_f32_e32 v6, 0xbeae86e6, v18
	v_mul_f32_e32 v15, 0x3f4a47b2, v15
	s_delay_alu instid0(VALU_DEP_4) | instskip(NEXT) | instid1(VALU_DEP_4)
	v_add_f32_e32 v1, v9, v12
	v_dual_sub_f32 v3, v7, v10 :: v_dual_sub_f32 v0, v8, v4
	s_delay_alu instid0(VALU_DEP_4) | instskip(SKIP_1) | instid1(VALU_DEP_2)
	v_fmac_f32_e32 v6, 0x3ee1c552, v14
	v_sub_f32_e32 v14, v144, v142
	v_add_f32_e32 v2, v6, v5
	ds_store_2addr_b64 v201, v[2:3], v[0:1] offset0:56 offset1:84
	v_add_f32_e32 v0, v4, v8
	v_dual_sub_f32 v1, v12, v9 :: v_dual_sub_f32 v2, v5, v6
	v_add_f32_e32 v3, v10, v7
	v_sub_f32_e32 v5, v97, v103
	v_sub_f32_e32 v12, v137, v143
	;; [unrolled: 1-line block ×3, first 2 shown]
	v_fmamk_f32 v8, v145, 0xbf955555, v76
	ds_store_2addr_b64 v201, v[0:1], v[2:3] offset0:112 offset1:140
	v_dual_sub_f32 v0, v19, v21 :: v_dual_add_f32 v1, v22, v20
	v_dual_sub_f32 v3, v98, v104 :: v_dual_sub_f32 v2, v95, v106
	v_mul_f32_e32 v12, 0x3f4a47b2, v12
	v_mad_u16 v6, 0xc4, v89, v90
	ds_store_b64 v201, v[0:1] offset:1344
	v_dual_sub_f32 v0, v102, v100 :: v_dual_sub_f32 v1, v101, v99
	v_fmamk_f32 v9, v146, 0xbf955555, v77
	v_dual_mov_b32 v35, v32 :: v_dual_and_b32 v6, 0xffff, v6
	s_delay_alu instid0(VALU_DEP_3) | instskip(NEXT) | instid1(VALU_DEP_4)
	v_sub_f32_e32 v16, v0, v3
	v_dual_sub_f32 v10, v1, v5 :: v_dual_add_f32 v7, v0, v3
	v_add_f32_e32 v13, v1, v5
	v_sub_f32_e32 v17, v2, v0
	s_delay_alu instid0(VALU_DEP_4) | instskip(NEXT) | instid1(VALU_DEP_4)
	v_mul_f32_e32 v16, 0xbf08b237, v16
	v_mul_f32_e32 v10, 0xbf08b237, v10
	v_sub_f32_e32 v18, v4, v1
	v_fmamk_f32 v0, v11, 0x3d64c772, v12
	v_add_f32_e32 v7, v7, v2
	v_add_f32_e32 v13, v13, v4
	v_fmamk_f32 v22, v17, 0x3eae86e6, v16
	v_fmamk_f32 v21, v18, 0x3eae86e6, v10
	v_dual_add_f32 v19, v0, v8 :: v_dual_fmamk_f32 v0, v14, 0x3d64c772, v15
	s_delay_alu instid0(VALU_DEP_3) | instskip(NEXT) | instid1(VALU_DEP_3)
	v_dual_fmac_f32 v22, 0x3ee1c552, v7 :: v_dual_lshlrev_b32 v199, 3, v6
	v_dual_fmac_f32 v21, 0x3ee1c552, v13 :: v_dual_sub_f32 v2, v3, v2
	s_delay_alu instid0(VALU_DEP_3) | instskip(NEXT) | instid1(VALU_DEP_2)
	v_dual_add_f32 v20, v0, v9 :: v_dual_sub_f32 v3, v5, v4
	v_dual_mul_f32 v5, 0x3d64c772, v14 :: v_dual_add_f32 v0, v21, v19
	s_delay_alu instid0(VALU_DEP_2) | instskip(NEXT) | instid1(VALU_DEP_4)
	v_dual_mul_f32 v4, 0x3d64c772, v11 :: v_dual_sub_f32 v1, v20, v22
	v_fma_f32 v11, 0x3f5ff5aa, v2, -v16
	s_delay_alu instid0(VALU_DEP_4)
	v_fma_f32 v6, 0x3f5ff5aa, v3, -v10
	v_mul_f32_e32 v10, 0xbf5ff5aa, v3
	ds_store_2addr_b64 v199, v[76:77], v[0:1] offset1:28
	v_sub_f32_e32 v1, v142, v141
	v_fmac_f32_e32 v11, 0x3ee1c552, v7
	v_fmac_f32_e32 v10, 0xbeae86e6, v18
	;; [unrolled: 1-line block ×3, first 2 shown]
	s_delay_alu instid0(VALU_DEP_4) | instskip(SKIP_1) | instid1(VALU_DEP_4)
	v_fma_f32 v5, 0x3f3bfb3b, v1, -v5
	v_fma_f32 v1, 0xbf3bfb3b, v1, -v15
	v_fmac_f32_e32 v10, 0x3ee1c552, v13
	s_delay_alu instid0(VALU_DEP_3) | instskip(NEXT) | instid1(VALU_DEP_3)
	v_add_f32_e32 v5, v5, v9
	v_add_f32_e32 v9, v1, v9
	s_delay_alu instid0(VALU_DEP_2) | instskip(SKIP_1) | instid1(VALU_DEP_1)
	v_add_f32_e32 v1, v11, v5
	v_sub_f32_e32 v0, v138, v137
	v_fma_f32 v4, 0x3f3bfb3b, v0, -v4
	v_fma_f32 v0, 0xbf3bfb3b, v0, -v12
	v_mul_f32_e32 v12, 0xbf5ff5aa, v2
	s_delay_alu instid0(VALU_DEP_3) | instskip(NEXT) | instid1(VALU_DEP_3)
	v_add_f32_e32 v4, v4, v8
	v_add_f32_e32 v8, v0, v8
	s_delay_alu instid0(VALU_DEP_3) | instskip(NEXT) | instid1(VALU_DEP_3)
	v_fmac_f32_e32 v12, 0xbeae86e6, v17
	v_sub_f32_e32 v0, v4, v6
	s_delay_alu instid0(VALU_DEP_3) | instskip(NEXT) | instid1(VALU_DEP_3)
	v_add_f32_e32 v2, v10, v8
	v_fmac_f32_e32 v12, 0x3ee1c552, v7
	s_delay_alu instid0(VALU_DEP_1)
	v_sub_f32_e32 v3, v9, v12
	ds_store_2addr_b64 v199, v[2:3], v[0:1] offset0:56 offset1:84
	v_dual_add_f32 v0, v6, v4 :: v_dual_sub_f32 v1, v5, v11
	v_sub_f32_e32 v2, v8, v10
	v_add_f32_e32 v3, v12, v9
	v_mad_u64_u32 v[4:5], null, v155, 24, s[10:11]
	ds_store_2addr_b64 v199, v[0:1], v[2:3] offset0:112 offset1:140
	v_dual_sub_f32 v0, v19, v21 :: v_dual_add_f32 v1, v22, v20
	ds_store_b64 v199, v[0:1] offset:1344
	s_waitcnt lgkmcnt(0)
	s_waitcnt_vscnt null, 0x0
	s_barrier
	buffer_gl0_inv
	global_load_b128 v[76:79], v[4:5], off offset:1512
	ds_load_2addr_b64 v[0:3], v163 offset0:56 offset1:252
	scratch_store_b32 off, v155, off offset:232 ; 4-byte Folded Spill
	s_waitcnt vmcnt(0) lgkmcnt(0)
	v_mul_f32_e32 v6, v1, v79
	v_mul_f32_e32 v9, v0, v79
	;; [unrolled: 1-line block ×3, first 2 shown]
	s_delay_alu instid0(VALU_DEP_3) | instskip(NEXT) | instid1(VALU_DEP_3)
	v_fma_f32 v8, v0, v78, -v6
	v_dual_mul_f32 v0, v3, v79 :: v_dual_fmac_f32 v9, v1, v78
	s_delay_alu instid0(VALU_DEP_3) | instskip(NEXT) | instid1(VALU_DEP_2)
	v_fmac_f32_e32 v17, v3, v78
	v_fma_f32 v16, v2, v78, -v0
	v_mul_u32_u24_e32 v0, 0xa73, v87
	s_delay_alu instid0(VALU_DEP_1) | instskip(NEXT) | instid1(VALU_DEP_1)
	v_lshrrev_b32_e32 v0, 17, v0
	v_mul_lo_u16 v0, 0xc4, v0
	s_delay_alu instid0(VALU_DEP_1) | instskip(NEXT) | instid1(VALU_DEP_1)
	v_sub_nc_u16 v18, v84, v0
	v_mul_lo_u16 v0, v18, 24
	s_delay_alu instid0(VALU_DEP_1) | instskip(NEXT) | instid1(VALU_DEP_1)
	v_and_b32_e32 v0, 0xffff, v0
	v_add_co_u32 v6, s2, s10, v0
	s_delay_alu instid0(VALU_DEP_1)
	v_add_co_ci_u32_e64 v7, null, s11, 0, s2
	ds_load_2addr_b64 v[0:3], v249 offset0:32 offset1:228
	s_clause 0x2
	global_load_b128 v[80:83], v[6:7], off offset:1512
	global_load_b64 v[221:222], v[4:5], off offset:1528
	global_load_b64 v[57:58], v[6:7], off offset:1528
	s_waitcnt lgkmcnt(0)
	v_mul_f32_e32 v10, v1, v77
	v_mul_f32_e32 v20, v0, v77
	s_delay_alu instid0(VALU_DEP_2) | instskip(NEXT) | instid1(VALU_DEP_2)
	v_fma_f32 v19, v0, v76, -v10
	v_fmac_f32_e32 v20, v1, v76
	s_waitcnt vmcnt(2)
	v_mul_f32_e32 v0, v3, v81
	v_mul_f32_e32 v22, v2, v81
	s_delay_alu instid0(VALU_DEP_2) | instskip(NEXT) | instid1(VALU_DEP_2)
	v_fma_f32 v21, v2, v80, -v0
	v_fmac_f32_e32 v22, v3, v80
	ds_load_2addr_b64 v[0:3], v32 offset0:24 offset1:220
	v_mov_b32_e32 v32, v161
	s_waitcnt vmcnt(1) lgkmcnt(0)
	v_mul_f32_e32 v4, v1, v222
	v_mul_f32_e32 v24, v0, v222
	s_waitcnt vmcnt(0)
	v_mul_f32_e32 v26, v2, v58
	s_delay_alu instid0(VALU_DEP_3) | instskip(SKIP_2) | instid1(VALU_DEP_4)
	v_fma_f32 v23, v0, v221, -v4
	v_mul_f32_e32 v0, v3, v58
	v_fmac_f32_e32 v24, v1, v221
	v_fmac_f32_e32 v26, v3, v57
	s_delay_alu instid0(VALU_DEP_3) | instskip(SKIP_1) | instid1(VALU_DEP_1)
	v_fma_f32 v25, v2, v57, -v0
	v_mul_u32_u24_e32 v0, 0xa73, v86
	v_lshrrev_b32_e32 v0, 17, v0
	s_delay_alu instid0(VALU_DEP_1) | instskip(NEXT) | instid1(VALU_DEP_1)
	v_mul_lo_u16 v0, 0xc4, v0
	v_sub_nc_u16 v27, v85, v0
	s_delay_alu instid0(VALU_DEP_1) | instskip(NEXT) | instid1(VALU_DEP_1)
	v_mul_lo_u16 v0, v27, 24
	v_and_b32_e32 v0, 0xffff, v0
	s_delay_alu instid0(VALU_DEP_1) | instskip(NEXT) | instid1(VALU_DEP_1)
	v_add_co_u32 v4, s2, s10, v0
	v_add_co_ci_u32_e64 v5, null, s11, 0, s2
	ds_load_2addr_b64 v[0:3], v158 offset1:196
	global_load_b128 v[84:87], v[4:5], off offset:1512
	s_waitcnt lgkmcnt(0)
	v_mul_f32_e32 v6, v1, v83
	v_mul_f32_e32 v29, v0, v83
	s_delay_alu instid0(VALU_DEP_2) | instskip(SKIP_1) | instid1(VALU_DEP_2)
	v_fma_f32 v28, v0, v82, -v6
	s_waitcnt vmcnt(0)
	v_dual_fmac_f32 v29, v1, v82 :: v_dual_mul_f32 v0, v3, v87
	v_mul_f32_e32 v31, v2, v87
	s_delay_alu instid0(VALU_DEP_2) | instskip(SKIP_1) | instid1(VALU_DEP_1)
	v_fma_f32 v30, v2, v86, -v0
	v_lshrrev_b16 v0, 2, v88
	v_dual_fmac_f32 v31, v3, v86 :: v_dual_and_b32 v0, 0xffff, v0
	s_delay_alu instid0(VALU_DEP_1) | instskip(NEXT) | instid1(VALU_DEP_1)
	v_mul_u32_u24_e32 v0, 0xa73, v0
	v_lshrrev_b32_e32 v0, 17, v0
	s_delay_alu instid0(VALU_DEP_1) | instskip(NEXT) | instid1(VALU_DEP_1)
	v_mul_lo_u16 v0, 0xc4, v0
	v_sub_nc_u16 v100, v88, v0
	s_delay_alu instid0(VALU_DEP_1) | instskip(NEXT) | instid1(VALU_DEP_1)
	v_mul_lo_u16 v0, v100, 24
	v_and_b32_e32 v0, 0xffff, v0
	s_delay_alu instid0(VALU_DEP_1) | instskip(NEXT) | instid1(VALU_DEP_1)
	v_add_co_u32 v6, s2, s10, v0
	v_add_co_ci_u32_e64 v7, null, s11, 0, s2
	ds_load_2addr_b64 v[0:3], v162 offset0:40 offset1:236
	s_clause 0x2
	global_load_b128 v[88:91], v[6:7], off offset:1512
	global_load_b64 v[235:236], v[4:5], off offset:1528
	global_load_b64 v[5:6], v[6:7], off offset:1528
	s_waitcnt lgkmcnt(0)
	v_mul_f32_e32 v10, v1, v85
	v_mul_f32_e32 v102, v0, v85
	s_delay_alu instid0(VALU_DEP_2) | instskip(NEXT) | instid1(VALU_DEP_2)
	v_fma_f32 v101, v0, v84, -v10
	v_fmac_f32_e32 v102, v1, v84
	s_waitcnt vmcnt(2)
	v_mul_f32_e32 v0, v3, v89
	v_mul_f32_e32 v108, v2, v89
	s_waitcnt vmcnt(0)
	scratch_store_b64 off, v[5:6], off offset:392 ; 8-byte Folded Spill
	v_fma_f32 v103, v2, v88, -v0
	v_fmac_f32_e32 v108, v3, v88
	ds_load_2addr_b64 v[0:3], v156 offset0:32 offset1:228
	s_waitcnt lgkmcnt(0)
	v_mul_f32_e32 v4, v1, v236
	v_mul_f32_e32 v110, v0, v236
	;; [unrolled: 1-line block ×3, first 2 shown]
	s_delay_alu instid0(VALU_DEP_3) | instskip(SKIP_1) | instid1(VALU_DEP_3)
	v_fma_f32 v109, v0, v235, -v4
	v_mul_f32_e32 v0, v3, v6
	v_fmac_f32_e32 v112, v3, v5
	v_fmac_f32_e32 v110, v1, v235
	s_delay_alu instid0(VALU_DEP_3) | instskip(SKIP_1) | instid1(VALU_DEP_1)
	v_fma_f32 v111, v2, v5, -v0
	v_lshrrev_b16 v0, 2, v92
	v_and_b32_e32 v0, 0xffff, v0
	s_delay_alu instid0(VALU_DEP_1) | instskip(NEXT) | instid1(VALU_DEP_1)
	v_mul_u32_u24_e32 v0, 0xa73, v0
	v_lshrrev_b32_e32 v0, 17, v0
	s_delay_alu instid0(VALU_DEP_1) | instskip(NEXT) | instid1(VALU_DEP_1)
	v_mul_lo_u16 v0, 0xc4, v0
	v_sub_nc_u16 v113, v92, v0
	s_delay_alu instid0(VALU_DEP_1) | instskip(NEXT) | instid1(VALU_DEP_1)
	v_mul_lo_u16 v0, v113, 24
	v_and_b32_e32 v0, 0xffff, v0
	s_delay_alu instid0(VALU_DEP_1) | instskip(NEXT) | instid1(VALU_DEP_1)
	v_add_co_u32 v4, s2, s10, v0
	v_add_co_ci_u32_e64 v5, null, s11, 0, s2
	ds_load_2addr_b64 v[0:3], v161 offset0:8 offset1:204
	global_load_b128 v[92:95], v[4:5], off offset:1512
	s_waitcnt lgkmcnt(0)
	v_mul_f32_e32 v6, v1, v91
	v_mul_f32_e32 v115, v0, v91
	s_delay_alu instid0(VALU_DEP_2) | instskip(SKIP_1) | instid1(VALU_DEP_2)
	v_fma_f32 v114, v0, v90, -v6
	s_waitcnt vmcnt(0)
	v_dual_fmac_f32 v115, v1, v90 :: v_dual_mul_f32 v0, v3, v95
	v_mul_f32_e32 v117, v2, v95
	s_delay_alu instid0(VALU_DEP_2) | instskip(SKIP_1) | instid1(VALU_DEP_1)
	v_fma_f32 v116, v2, v94, -v0
	v_lshrrev_b16 v0, 2, v96
	v_dual_fmac_f32 v117, v3, v94 :: v_dual_and_b32 v0, 0xffff, v0
	s_delay_alu instid0(VALU_DEP_1) | instskip(NEXT) | instid1(VALU_DEP_1)
	v_mul_u32_u24_e32 v0, 0xa73, v0
	v_lshrrev_b32_e32 v0, 17, v0
	s_delay_alu instid0(VALU_DEP_1) | instskip(NEXT) | instid1(VALU_DEP_1)
	v_mul_lo_u16 v0, 0xc4, v0
	v_sub_nc_u16 v118, v96, v0
	s_delay_alu instid0(VALU_DEP_1) | instskip(NEXT) | instid1(VALU_DEP_1)
	v_mul_lo_u16 v0, v118, 24
	v_and_b32_e32 v6, 0xffff, v0
	ds_load_2addr_b64 v[0:3], v159 offset0:48 offset1:244
	v_add_co_u32 v6, s2, s10, v6
	s_waitcnt lgkmcnt(0)
	v_mul_f32_e32 v7, v1, v93
	v_mul_f32_e32 v120, v0, v93
	s_delay_alu instid0(VALU_DEP_2) | instskip(SKIP_1) | instid1(VALU_DEP_3)
	v_fma_f32 v119, v0, v92, -v7
	v_add_co_ci_u32_e64 v7, null, s11, 0, s2
	v_fmac_f32_e32 v120, v1, v92
	s_mul_i32 s2, s5, 0x1880
	global_load_b128 v[104:107], v[6:7], off offset:1512
	s_add_i32 s2, s3, s2
	s_mul_i32 s3, s4, 0x1880
	s_waitcnt vmcnt(0)
	v_mul_f32_e32 v0, v3, v105
	v_mul_f32_e32 v122, v2, v105
	s_delay_alu instid0(VALU_DEP_2) | instskip(NEXT) | instid1(VALU_DEP_2)
	v_fma_f32 v121, v2, v104, -v0
	v_fmac_f32_e32 v122, v3, v104
	ds_load_2addr_b64 v[0:3], v157 offset0:16 offset1:212
	s_clause 0x1
	global_load_b64 v[231:232], v[4:5], off offset:1528
	global_load_b64 v[178:179], v[6:7], off offset:1528
	s_waitcnt lgkmcnt(0)
	v_mul_f32_e32 v10, v3, v222
	v_dual_mul_f32 v11, v2, v222 :: v_dual_mul_f32 v124, v0, v107
	s_delay_alu instid0(VALU_DEP_2) | instskip(NEXT) | instid1(VALU_DEP_2)
	v_fma_f32 v10, v2, v221, -v10
	v_dual_mul_f32 v2, v1, v107 :: v_dual_fmac_f32 v11, v3, v221
	s_delay_alu instid0(VALU_DEP_3) | instskip(NEXT) | instid1(VALU_DEP_2)
	v_fmac_f32_e32 v124, v1, v106
	v_fma_f32 v123, v0, v106, -v2
	ds_load_2addr_b64 v[0:3], v36 offset0:40 offset1:236
	s_waitcnt vmcnt(1) lgkmcnt(0)
	v_mul_f32_e32 v4, v1, v232
	v_mul_f32_e32 v126, v0, v232
	s_waitcnt vmcnt(0)
	v_mul_f32_e32 v128, v2, v179
	s_delay_alu instid0(VALU_DEP_3) | instskip(SKIP_2) | instid1(VALU_DEP_4)
	v_fma_f32 v125, v0, v231, -v4
	v_mul_f32_e32 v0, v3, v179
	v_fmac_f32_e32 v126, v1, v231
	v_fmac_f32_e32 v128, v3, v178
	s_delay_alu instid0(VALU_DEP_3) | instskip(SKIP_4) | instid1(VALU_DEP_2)
	v_fma_f32 v127, v2, v178, -v0
	ds_load_2addr_b64 v[0:3], v237 offset0:24 offset1:220
	s_waitcnt lgkmcnt(0)
	v_mul_f32_e32 v4, v3, v77
	v_mul_f32_e32 v7, v2, v77
	v_fma_f32 v6, v2, v76, -v4
	s_delay_alu instid0(VALU_DEP_2) | instskip(SKIP_3) | instid1(VALU_DEP_2)
	v_fmac_f32_e32 v7, v3, v76
	ds_load_2addr_b64 v[2:5], v234 offset1:196
	v_sub_f32_e32 v12, v6, v10
	v_sub_f32_e32 v10, v7, v11
	v_fma_f32 v6, v6, 2.0, -v12
	s_delay_alu instid0(VALU_DEP_2) | instskip(SKIP_2) | instid1(VALU_DEP_1)
	v_fma_f32 v7, v7, 2.0, -v10
	s_waitcnt lgkmcnt(0)
	v_dual_sub_f32 v8, v2, v8 :: v_dual_sub_f32 v9, v3, v9
	v_fma_f32 v13, v2, 2.0, -v8
	s_delay_alu instid0(VALU_DEP_2) | instskip(SKIP_1) | instid1(VALU_DEP_2)
	v_fma_f32 v14, v3, 2.0, -v9
	v_dual_sub_f32 v10, v8, v10 :: v_dual_add_f32 v11, v9, v12
	v_dual_sub_f32 v2, v13, v6 :: v_dual_sub_f32 v3, v14, v7
	s_delay_alu instid0(VALU_DEP_2) | instskip(NEXT) | instid1(VALU_DEP_2)
	v_fma_f32 v15, v9, 2.0, -v11
	v_fma_f32 v12, v13, 2.0, -v2
	s_delay_alu instid0(VALU_DEP_3)
	v_fma_f32 v13, v14, 2.0, -v3
	v_fma_f32 v14, v8, 2.0, -v10
	ds_load_2addr_b64 v[6:9], v197 offset0:8 offset1:204
	ds_load_2addr_b64 v[96:99], v248 offset0:16 offset1:212
	s_waitcnt lgkmcnt(0)
	s_waitcnt_vscnt null, 0x0
	s_barrier
	buffer_gl0_inv
	ds_store_2addr_b64 v234, v[12:13], v[14:15] offset1:196
	ds_store_2addr_b64 v197, v[2:3], v[10:11] offset0:8 offset1:204
	v_dual_sub_f32 v12, v4, v16 :: v_dual_sub_f32 v13, v5, v17
	s_delay_alu instid0(VALU_DEP_1) | instskip(NEXT) | instid1(VALU_DEP_2)
	v_fma_f32 v10, v4, 2.0, -v12
	v_fma_f32 v11, v5, 2.0, -v13
	v_dual_sub_f32 v5, v19, v23 :: v_dual_sub_f32 v4, v20, v24
	s_delay_alu instid0(VALU_DEP_1) | instskip(NEXT) | instid1(VALU_DEP_2)
	v_fma_f32 v2, v19, 2.0, -v5
	v_fma_f32 v3, v20, 2.0, -v4
	v_dual_sub_f32 v4, v12, v4 :: v_dual_add_f32 v5, v13, v5
	s_delay_alu instid0(VALU_DEP_2) | instskip(NEXT) | instid1(VALU_DEP_2)
	v_dual_sub_f32 v2, v10, v2 :: v_dual_sub_f32 v3, v11, v3
	v_fma_f32 v12, v12, 2.0, -v4
	s_delay_alu instid0(VALU_DEP_3) | instskip(NEXT) | instid1(VALU_DEP_3)
	v_fma_f32 v13, v13, 2.0, -v5
	v_fma_f32 v10, v10, 2.0, -v2
	s_delay_alu instid0(VALU_DEP_4)
	v_fma_f32 v11, v11, 2.0, -v3
	ds_store_2addr_b64 v248, v[10:11], v[12:13] offset0:16 offset1:212
	ds_store_2addr_b64 v237, v[2:3], v[4:5] offset0:24 offset1:220
	v_dual_sub_f32 v5, v21, v25 :: v_dual_sub_f32 v4, v22, v26
	v_dual_sub_f32 v10, v6, v28 :: v_dual_sub_f32 v11, v7, v29
	v_and_b32_e32 v12, 0xffff, v18
	s_delay_alu instid0(VALU_DEP_3) | instskip(NEXT) | instid1(VALU_DEP_4)
	v_fma_f32 v2, v21, 2.0, -v5
	v_fma_f32 v3, v22, 2.0, -v4
	s_delay_alu instid0(VALU_DEP_4) | instskip(SKIP_3) | instid1(VALU_DEP_3)
	v_fma_f32 v6, v6, 2.0, -v10
	v_fma_f32 v7, v7, 2.0, -v11
	v_dual_sub_f32 v4, v10, v4 :: v_dual_add_f32 v5, v11, v5
	v_lshlrev_b32_e32 v12, 3, v12
	v_dual_sub_f32 v2, v6, v2 :: v_dual_sub_f32 v3, v7, v3
	s_delay_alu instid0(VALU_DEP_3) | instskip(NEXT) | instid1(VALU_DEP_4)
	v_fma_f32 v10, v10, 2.0, -v4
	v_fma_f32 v11, v11, 2.0, -v5
	s_delay_alu instid0(VALU_DEP_4) | instskip(NEXT) | instid1(VALU_DEP_4)
	v_add_nc_u32_e32 v13, 0x3000, v12
	v_fma_f32 v6, v6, 2.0, -v2
	v_fma_f32 v7, v7, 2.0, -v3
	ds_store_2addr_b64 v13, v[6:7], v[10:11] offset0:32 offset1:228
	v_add_nc_u32_e32 v6, 0x3c00, v12
	v_dual_sub_f32 v10, v8, v30 :: v_dual_sub_f32 v11, v9, v31
	s_clause 0x1
	scratch_store_b32 off, v13, off offset:368
	scratch_store_b32 off, v6, off offset:372
	ds_store_2addr_b64 v6, v[2:3], v[4:5] offset0:40 offset1:236
	v_dual_sub_f32 v4, v102, v110 :: v_dual_sub_f32 v5, v101, v109
	v_fma_f32 v6, v8, 2.0, -v10
	v_fma_f32 v7, v9, 2.0, -v11
	s_delay_alu instid0(VALU_DEP_3) | instskip(SKIP_3) | instid1(VALU_DEP_4)
	v_fma_f32 v3, v102, 2.0, -v4
	v_sub_f32_e32 v4, v10, v4
	v_fma_f32 v2, v101, 2.0, -v5
	v_add_f32_e32 v5, v11, v5
	v_sub_f32_e32 v3, v7, v3
	s_delay_alu instid0(VALU_DEP_4) | instskip(SKIP_4) | instid1(VALU_DEP_4)
	v_fma_f32 v8, v10, 2.0, -v4
	v_and_b32_e32 v10, 0xffff, v27
	v_sub_f32_e32 v2, v6, v2
	v_fma_f32 v9, v11, 2.0, -v5
	v_fma_f32 v7, v7, 2.0, -v3
	v_lshlrev_b32_e32 v10, 3, v10
	s_delay_alu instid0(VALU_DEP_4) | instskip(NEXT) | instid1(VALU_DEP_2)
	v_fma_f32 v6, v6, 2.0, -v2
	v_add_nc_u32_e32 v11, 0x4800, v10
	ds_store_2addr_b64 v11, v[6:7], v[8:9] offset0:48 offset1:244
	v_add_nc_u32_e32 v6, 0x5400, v10
	v_and_b32_e32 v10, 0xffff, v100
	v_dual_sub_f32 v8, v96, v114 :: v_dual_sub_f32 v9, v97, v115
	scratch_store_b32 off, v11, off offset:376 ; 4-byte Folded Spill
	ds_store_2addr_b64 v6, v[2:3], v[4:5] offset0:56 offset1:252
	v_dual_sub_f32 v5, v103, v111 :: v_dual_sub_f32 v4, v108, v112
	v_lshlrev_b32_e32 v10, 3, v10
	v_fma_f32 v7, v97, 2.0, -v9
	s_delay_alu instid0(VALU_DEP_3) | instskip(NEXT) | instid1(VALU_DEP_4)
	v_fma_f32 v2, v103, 2.0, -v5
	v_fma_f32 v3, v108, 2.0, -v4
	s_delay_alu instid0(VALU_DEP_4) | instskip(SKIP_3) | instid1(VALU_DEP_2)
	v_add_nc_u32_e32 v11, 0x6200, v10
	scratch_store_b32 off, v6, off offset:380 ; 4-byte Folded Spill
	v_fma_f32 v6, v96, 2.0, -v8
	v_dual_sub_f32 v4, v8, v4 :: v_dual_sub_f32 v3, v7, v3
	v_dual_add_f32 v5, v9, v5 :: v_dual_sub_f32 v2, v6, v2
	s_delay_alu instid0(VALU_DEP_2) | instskip(NEXT) | instid1(VALU_DEP_3)
	v_fma_f32 v8, v8, 2.0, -v4
	v_fma_f32 v7, v7, 2.0, -v3
	s_delay_alu instid0(VALU_DEP_3) | instskip(NEXT) | instid1(VALU_DEP_4)
	v_fma_f32 v9, v9, 2.0, -v5
	v_fma_f32 v6, v6, 2.0, -v2
	ds_store_2addr_b64 v11, v[6:7], v[8:9] offset1:196
	v_add_nc_u32_e32 v6, 0x6e00, v10
	v_and_b32_e32 v10, 0xffff, v113
	v_dual_sub_f32 v8, v98, v116 :: v_dual_sub_f32 v9, v99, v117
	scratch_store_b32 off, v11, off offset:384 ; 4-byte Folded Spill
	ds_store_2addr_b64 v6, v[2:3], v[4:5] offset0:8 offset1:204
	v_dual_sub_f32 v5, v119, v125 :: v_dual_sub_f32 v4, v120, v126
	v_lshlrev_b32_e32 v10, 3, v10
	v_fma_f32 v7, v99, 2.0, -v9
	s_delay_alu instid0(VALU_DEP_3) | instskip(NEXT) | instid1(VALU_DEP_4)
	v_fma_f32 v2, v119, 2.0, -v5
	v_fma_f32 v3, v120, 2.0, -v4
	s_delay_alu instid0(VALU_DEP_4)
	v_add_nc_u32_e32 v11, 0x7a00, v10
	scratch_store_b32 off, v6, off offset:388 ; 4-byte Folded Spill
	v_fma_f32 v6, v98, 2.0, -v8
	v_dual_sub_f32 v4, v8, v4 :: v_dual_sub_f32 v3, v7, v3
	v_add_f32_e32 v5, v9, v5
	scratch_store_b32 off, v11, off offset:412 ; 4-byte Folded Spill
	v_sub_f32_e32 v2, v6, v2
	v_fma_f32 v8, v8, 2.0, -v4
	v_fma_f32 v7, v7, 2.0, -v3
	;; [unrolled: 1-line block ×3, first 2 shown]
	s_delay_alu instid0(VALU_DEP_4) | instskip(SKIP_3) | instid1(VALU_DEP_2)
	v_fma_f32 v6, v6, 2.0, -v2
	ds_store_2addr_b64 v11, v[6:7], v[8:9] offset0:16 offset1:212
	v_and_b32_e32 v8, 0xffff, v118
	v_dual_sub_f32 v7, v1, v124 :: v_dual_add_nc_u32 v6, 0x8600, v10
	v_lshlrev_b32_e32 v8, 3, v8
	ds_store_2addr_b64 v6, v[2:3], v[4:5] offset0:24 offset1:220
	v_dual_sub_f32 v3, v121, v127 :: v_dual_sub_f32 v2, v122, v128
	v_fma_f32 v5, v1, 2.0, -v7
	v_add_nc_u32_e32 v9, 0x9200, v8
	scratch_store_b32 off, v6, off offset:404 ; 4-byte Folded Spill
	v_sub_f32_e32 v6, v0, v123
	v_fma_f32 v1, v122, 2.0, -v2
	scratch_store_b32 off, v9, off offset:400 ; 4-byte Folded Spill
	v_fma_f32 v4, v0, 2.0, -v6
	v_fma_f32 v0, v121, 2.0, -v3
	v_dual_sub_f32 v1, v5, v1 :: v_dual_sub_f32 v2, v6, v2
	s_delay_alu instid0(VALU_DEP_2) | instskip(NEXT) | instid1(VALU_DEP_2)
	v_dual_add_f32 v3, v7, v3 :: v_dual_sub_f32 v0, v4, v0
	v_fma_f32 v5, v5, 2.0, -v1
	s_delay_alu instid0(VALU_DEP_3) | instskip(NEXT) | instid1(VALU_DEP_3)
	v_fma_f32 v6, v6, 2.0, -v2
	v_fma_f32 v7, v7, 2.0, -v3
	s_delay_alu instid0(VALU_DEP_4)
	v_fma_f32 v4, v4, 2.0, -v0
	ds_store_2addr_b64 v9, v[4:5], v[6:7] offset0:32 offset1:228
	v_add_nc_u32_e32 v4, 0x9e00, v8
	ds_store_2addr_b64 v4, v[0:1], v[2:3] offset0:40 offset1:236
	v_add_co_u32 v0, vcc_lo, 0x1000, v132
	v_add_co_ci_u32_e32 v1, vcc_lo, 0, v133, vcc_lo
	scratch_store_b32 off, v4, off offset:408 ; 4-byte Folded Spill
	s_waitcnt lgkmcnt(0)
	s_waitcnt_vscnt null, 0x0
	s_barrier
	buffer_gl0_inv
	global_load_b128 v[96:99], v[0:1], off offset:2120
	ds_load_2addr_b64 v[0:3], v248 offset0:16 offset1:212
	ds_load_2addr_b64 v[9:12], v158 offset1:196
	ds_load_2addr_b64 v[120:123], v237 offset0:24 offset1:220
	s_waitcnt vmcnt(0) lgkmcnt(2)
	v_mul_f32_e32 v4, v1, v97
	v_mul_f32_e32 v14, v0, v97
	s_delay_alu instid0(VALU_DEP_2) | instskip(SKIP_2) | instid1(VALU_DEP_4)
	v_fma_f32 v149, v0, v96, -v4
	v_add_co_u32 v4, vcc_lo, 0x3000, v132
	v_add_co_ci_u32_e32 v5, vcc_lo, 0, v133, vcc_lo
	v_fmac_f32_e32 v14, v1, v96
	global_load_b128 v[112:115], v[4:5], off offset:3336
	s_waitcnt vmcnt(0)
	v_mul_f32_e32 v0, v3, v113
	v_mul_f32_e32 v21, v2, v113
	s_delay_alu instid0(VALU_DEP_2) | instskip(NEXT) | instid1(VALU_DEP_2)
	v_fma_f32 v165, v2, v112, -v0
	v_fmac_f32_e32 v21, v3, v112
	ds_load_2addr_b64 v[1:4], v249 offset0:32 offset1:228
	s_waitcnt lgkmcnt(0)
	v_mul_f32_e32 v0, v2, v99
	v_mul_f32_e32 v25, v1, v99
	;; [unrolled: 1-line block ×3, first 2 shown]
	s_delay_alu instid0(VALU_DEP_3) | instskip(NEXT) | instid1(VALU_DEP_3)
	v_fma_f32 v148, v1, v98, -v0
	v_dual_mul_f32 v0, v4, v115 :: v_dual_fmac_f32 v25, v2, v98
	s_delay_alu instid0(VALU_DEP_3) | instskip(NEXT) | instid1(VALU_DEP_2)
	v_fmac_f32_e32 v23, v4, v114
	v_fma_f32 v239, v3, v114, -v0
	v_add_co_u32 v0, vcc_lo, 0x1848, v132
	v_add_co_ci_u32_e32 v1, vcc_lo, 0, v133, vcc_lo
	v_add_co_u32 v100, vcc_lo, 0x3d08, v132
	v_add_co_ci_u32_e32 v101, vcc_lo, 0, v133, vcc_lo
	s_clause 0x1
	global_load_b128 v[128:131], v[0:1], off offset:16
	global_load_b128 v[116:119], v[0:1], off offset:32
	ds_load_2addr_b64 v[2:5], v159 offset0:48 offset1:244
	s_clause 0x1
	global_load_b128 v[108:111], v[100:101], off offset:16
	global_load_b128 v[100:103], v[100:101], off offset:32
	s_waitcnt vmcnt(3) lgkmcnt(0)
	v_mul_f32_e32 v8, v3, v129
	v_mul_f32_e32 v29, v2, v129
	s_waitcnt vmcnt(1)
	v_dual_mul_f32 v22, v4, v109 :: v_dual_mul_f32 v13, v11, v111
	s_delay_alu instid0(VALU_DEP_3) | instskip(NEXT) | instid1(VALU_DEP_3)
	v_fma_f32 v7, v2, v128, -v8
	v_dual_mul_f32 v2, v5, v109 :: v_dual_fmac_f32 v29, v3, v128
	s_delay_alu instid0(VALU_DEP_3) | instskip(SKIP_2) | instid1(VALU_DEP_4)
	v_fmac_f32_e32 v22, v5, v108
	v_mul_f32_e32 v5, v9, v131
	v_fmac_f32_e32 v13, v12, v110
	v_fma_f32 v160, v4, v108, -v2
	v_mul_f32_e32 v2, v10, v131
	s_delay_alu instid0(VALU_DEP_4) | instskip(NEXT) | instid1(VALU_DEP_4)
	v_fmac_f32_e32 v5, v10, v130
	v_add_f32_e32 v38, v22, v13
	s_delay_alu instid0(VALU_DEP_3) | instskip(SKIP_1) | instid1(VALU_DEP_4)
	v_fma_f32 v6, v9, v130, -v2
	v_mul_f32_e32 v2, v12, v111
	v_add_f32_e32 v26, v29, v5
	s_delay_alu instid0(VALU_DEP_2)
	v_fma_f32 v159, v11, v110, -v2
	ds_load_2addr_b64 v[9:12], v157 offset0:16 offset1:212
	s_waitcnt lgkmcnt(0)
	v_mul_f32_e32 v0, v10, v117
	v_mul_f32_e32 v31, v9, v117
	s_waitcnt vmcnt(0)
	v_mul_f32_e32 v163, v11, v101
	s_delay_alu instid0(VALU_DEP_3) | instskip(NEXT) | instid1(VALU_DEP_3)
	v_fma_f32 v4, v9, v116, -v0
	v_dual_mul_f32 v0, v12, v101 :: v_dual_fmac_f32 v31, v10, v116
	s_delay_alu instid0(VALU_DEP_3) | instskip(NEXT) | instid1(VALU_DEP_3)
	v_fmac_f32_e32 v163, v12, v100
	v_add_f32_e32 v176, v148, v4
	s_delay_alu instid0(VALU_DEP_3)
	v_fma_f32 v158, v11, v100, -v0
	ds_load_2addr_b64 v[9:12], v156 offset0:32 offset1:228
	ds_load_2addr_b64 v[154:157], v35 offset0:24 offset1:220
	v_add_f32_e32 v202, v25, v31
	v_add_f32_e32 v39, v23, v163
	;; [unrolled: 1-line block ×3, first 2 shown]
	s_waitcnt lgkmcnt(1)
	v_mul_f32_e32 v0, v10, v119
	v_mul_f32_e32 v162, v9, v119
	;; [unrolled: 1-line block ×3, first 2 shown]
	s_delay_alu instid0(VALU_DEP_3) | instskip(SKIP_1) | instid1(VALU_DEP_4)
	v_fma_f32 v161, v9, v118, -v0
	v_mul_f32_e32 v0, v12, v103
	v_fmac_f32_e32 v162, v10, v118
	s_delay_alu instid0(VALU_DEP_4) | instskip(NEXT) | instid1(VALU_DEP_3)
	v_fmac_f32_e32 v164, v12, v102
	v_fma_f32 v153, v11, v102, -v0
	v_add_co_u32 v0, vcc_lo, 0x6000, v132
	v_add_co_ci_u32_e32 v1, vcc_lo, 0, v133, vcc_lo
	v_add_f32_e32 v30, v14, v162
	s_delay_alu instid0(VALU_DEP_4)
	v_add_f32_e32 v48, v165, v153
	v_add_f32_e32 v40, v21, v164
	global_load_b128 v[144:147], v[0:1], off offset:456
	s_waitcnt vmcnt(0)
	v_mul_f32_e32 v0, v121, v145
	v_mul_f32_e32 v166, v120, v145
	s_delay_alu instid0(VALU_DEP_2) | instskip(SKIP_2) | instid1(VALU_DEP_4)
	v_fma_f32 v152, v120, v144, -v0
	v_add_co_u32 v0, vcc_lo, 0x8000, v132
	v_add_co_ci_u32_e32 v1, vcc_lo, 0, v133, vcc_lo
	v_fmac_f32_e32 v166, v121, v144
	global_load_b128 v[124:127], v[0:1], off offset:1672
	s_waitcnt vmcnt(0)
	v_mul_f32_e32 v0, v123, v125
	v_mul_f32_e32 v27, v122, v125
	s_delay_alu instid0(VALU_DEP_2) | instskip(NEXT) | instid1(VALU_DEP_2)
	v_fma_f32 v177, v122, v124, -v0
	v_fmac_f32_e32 v27, v123, v124
	ds_load_2addr_b64 v[120:123], v33 offset0:40 offset1:236
	v_add_f32_e32 v33, v149, v161
	s_waitcnt lgkmcnt(0)
	v_mul_f32_e32 v0, v121, v147
	v_mul_f32_e32 v168, v120, v147
	;; [unrolled: 1-line block ×3, first 2 shown]
	s_delay_alu instid0(VALU_DEP_3) | instskip(SKIP_1) | instid1(VALU_DEP_4)
	v_fma_f32 v151, v120, v146, -v0
	v_mul_f32_e32 v0, v123, v127
	v_fmac_f32_e32 v168, v121, v146
	s_delay_alu instid0(VALU_DEP_4) | instskip(NEXT) | instid1(VALU_DEP_3)
	v_fmac_f32_e32 v24, v123, v126
	v_fma_f32 v175, v122, v126, -v0
	v_add_co_u32 v0, vcc_lo, 0x61c8, v132
	v_add_co_ci_u32_e32 v1, vcc_lo, 0, v133, vcc_lo
	v_add_co_u32 v2, vcc_lo, 0x8688, v132
	v_add_co_ci_u32_e32 v3, vcc_lo, 0, v133, vcc_lo
	s_clause 0x1
	global_load_b128 v[140:143], v[0:1], off offset:16
	global_load_b128 v[136:139], v[0:1], off offset:32
	ds_load_2addr_b64 v[132:135], v34 offset0:56 offset1:252
	global_load_b128 v[120:123], v[2:3], off offset:16
	s_waitcnt vmcnt(2) lgkmcnt(0)
	v_mul_f32_e32 v8, v133, v141
	v_mul_f32_e32 v10, v132, v141
	s_waitcnt vmcnt(1)
	v_mul_f32_e32 v0, v155, v137
	s_waitcnt vmcnt(0)
	v_mul_f32_e32 v9, v135, v121
	v_mul_f32_e32 v28, v134, v121
	v_fma_f32 v150, v132, v140, -v8
	v_fmac_f32_e32 v10, v133, v140
	v_fma_f32 v191, v154, v136, -v0
	v_fma_f32 v169, v134, v120, -v9
	v_fmac_f32_e32 v28, v135, v120
	ds_load_2addr_b64 v[132:135], v32 offset0:8 offset1:204
	v_mul_f32_e32 v192, v154, v137
	v_add_f32_e32 v32, v7, v6
	v_add_f32_e32 v41, v151, v191
	s_delay_alu instid0(VALU_DEP_3) | instskip(NEXT) | instid1(VALU_DEP_1)
	v_fmac_f32_e32 v192, v155, v136
	v_add_f32_e32 v45, v168, v192
	s_waitcnt lgkmcnt(0)
	v_mul_f32_e32 v9, v133, v143
	v_mul_f32_e32 v190, v132, v143
	;; [unrolled: 1-line block ×3, first 2 shown]
	s_delay_alu instid0(VALU_DEP_3) | instskip(NEXT) | instid1(VALU_DEP_3)
	v_fma_f32 v189, v132, v142, -v9
	v_dual_mul_f32 v9, v135, v123 :: v_dual_fmac_f32 v190, v133, v142
	s_delay_alu instid0(VALU_DEP_3) | instskip(NEXT) | instid1(VALU_DEP_3)
	v_fmac_f32_e32 v170, v135, v122
	v_add_f32_e32 v42, v150, v189
	s_delay_alu instid0(VALU_DEP_3)
	v_fma_f32 v167, v134, v122, -v9
	global_load_b128 v[132:135], v[2:3], off offset:32
	v_add_f32_e32 v46, v10, v190
	v_add_f32_e32 v54, v28, v170
	;; [unrolled: 1-line block ×3, first 2 shown]
	s_waitcnt vmcnt(0)
	v_mul_f32_e32 v0, v157, v133
	s_delay_alu instid0(VALU_DEP_1) | instskip(SKIP_3) | instid1(VALU_DEP_2)
	v_fma_f32 v155, v156, v132, -v0
	ds_load_2addr_b64 v[0:3], v36 offset0:40 offset1:236
	v_mul_f32_e32 v156, v156, v133
	v_add_f32_e32 v36, v160, v159
	v_dual_add_f32 v49, v175, v155 :: v_dual_fmac_f32 v156, v157, v132
	s_delay_alu instid0(VALU_DEP_1) | instskip(SKIP_4) | instid1(VALU_DEP_3)
	v_add_f32_e32 v53, v24, v156
	s_waitcnt lgkmcnt(0)
	v_mul_f32_e32 v9, v1, v139
	v_mul_f32_e32 v238, v0, v139
	v_mul_f32_e32 v157, v2, v135
	v_fma_f32 v198, v0, v138, -v9
	v_mul_f32_e32 v0, v3, v135
	s_delay_alu instid0(VALU_DEP_4) | instskip(NEXT) | instid1(VALU_DEP_4)
	v_fmac_f32_e32 v238, v1, v138
	v_fmac_f32_e32 v157, v3, v134
	s_delay_alu instid0(VALU_DEP_4) | instskip(NEXT) | instid1(VALU_DEP_4)
	v_add_f32_e32 v35, v152, v198
	v_fma_f32 v154, v2, v134, -v0
	v_add_f32_e32 v0, v176, v33
	s_delay_alu instid0(VALU_DEP_4) | instskip(NEXT) | instid1(VALU_DEP_2)
	v_dual_add_f32 v34, v166, v238 :: v_dual_add_f32 v59, v27, v157
	v_dual_add_f32 v37, v177, v154 :: v_dual_add_f32 v200, v32, v0
	v_add_f32_e32 v0, v202, v30
	s_delay_alu instid0(VALU_DEP_1) | instskip(SKIP_1) | instid1(VALU_DEP_1)
	v_add_f32_e32 v180, v26, v0
	v_add_f32_e32 v0, v44, v48
	;; [unrolled: 1-line block ×4, first 2 shown]
	s_delay_alu instid0(VALU_DEP_1)
	v_add_f32_e32 v52, v38, v0
	ds_load_2addr_b64 v[0:3], v234 offset1:196
	s_waitcnt lgkmcnt(0)
	v_dual_add_f32 v19, v0, v200 :: v_dual_add_f32 v0, v41, v35
	v_add_f32_e32 v20, v1, v180
	v_add_f32_e32 v17, v2, v56
	;; [unrolled: 1-line block ×3, first 2 shown]
	s_delay_alu instid0(VALU_DEP_4) | instskip(NEXT) | instid1(VALU_DEP_1)
	v_dual_add_f32 v43, v42, v0 :: v_dual_add_f32 v0, v45, v34
	v_dual_add_f32 v47, v46, v0 :: v_dual_add_f32 v0, v49, v37
	s_delay_alu instid0(VALU_DEP_1) | instskip(NEXT) | instid1(VALU_DEP_1)
	v_dual_add_f32 v51, v50, v0 :: v_dual_add_f32 v0, v53, v59
	v_add_f32_e32 v55, v54, v0
	ds_load_2addr_b64 v[0:3], v197 offset0:8 offset1:204
	s_waitcnt lgkmcnt(0)
	v_add_f32_e32 v16, v1, v47
	v_add_f32_e32 v11, v2, v51
	v_dual_add_f32 v12, v3, v55 :: v_dual_sub_f32 v1, v14, v162
	v_dual_sub_f32 v2, v148, v4 :: v_dual_sub_f32 v3, v25, v31
	v_dual_sub_f32 v14, v6, v7 :: v_dual_sub_f32 v25, v5, v29
	v_dual_add_f32 v15, v0, v43 :: v_dual_sub_f32 v0, v149, v161
	s_delay_alu instid0(VALU_DEP_2) | instskip(NEXT) | instid1(VALU_DEP_3)
	v_dual_sub_f32 v31, v32, v176 :: v_dual_add_f32 v4, v14, v2
	v_sub_f32_e32 v7, v25, v3
	v_dual_sub_f32 v29, v176, v33 :: v_dual_add_f32 v6, v25, v3
	v_sub_f32_e32 v3, v3, v1
	s_delay_alu instid0(VALU_DEP_4)
	v_add_f32_e32 v161, v4, v0
	v_fmamk_f32 v162, v200, 0xbf955555, v19
	v_mul_f32_e32 v4, 0x3d64c772, v31
	v_mul_f32_e32 v200, 0xbf08b237, v7
	v_sub_f32_e32 v148, v202, v30
	v_sub_f32_e32 v149, v26, v202
	v_add_f32_e32 v202, v6, v1
	v_fma_f32 v4, 0x3f3bfb3b, v29, -v4
	v_fma_f32 v8, 0x3f5ff5aa, v3, -v200
	v_sub_f32_e32 v5, v14, v2
	v_sub_f32_e32 v2, v2, v0
	;; [unrolled: 1-line block ×3, first 2 shown]
	v_add_f32_e32 v4, v4, v162
	v_fmac_f32_e32 v8, 0x3ee1c552, v202
	v_fmamk_f32 v176, v180, 0xbf955555, v20
	v_mul_f32_e32 v180, 0x3d64c772, v149
	v_dual_sub_f32 v14, v0, v14 :: v_dual_sub_f32 v25, v1, v25
	s_delay_alu instid0(VALU_DEP_4)
	v_sub_f32_e32 v6, v4, v8
	v_add_f32_e32 v8, v8, v4
	v_sub_f32_e32 v4, v33, v32
	v_mul_f32_e32 v26, 0x3f4a47b2, v26
	v_dual_mul_f32 v3, 0xbf5ff5aa, v3 :: v_dual_mul_f32 v30, 0xbf5ff5aa, v2
	v_fma_f32 v180, 0x3f3bfb3b, v148, -v180
	s_delay_alu instid0(VALU_DEP_4) | instskip(SKIP_3) | instid1(VALU_DEP_4)
	v_mul_f32_e32 v4, 0x3f4a47b2, v4
	v_mul_f32_e32 v5, 0xbf08b237, v5
	v_fma_f32 v1, 0xbf3bfb3b, v148, -v26
	v_dual_fmac_f32 v3, 0xbeae86e6, v25 :: v_dual_fmac_f32 v30, 0xbeae86e6, v14
	v_fma_f32 v0, 0xbf3bfb3b, v29, -v4
	v_add_f32_e32 v9, v180, v176
	v_fma_f32 v180, 0x3f5ff5aa, v2, -v5
	v_fmamk_f32 v4, v31, 0x3d64c772, v4
	v_fmamk_f32 v26, v149, 0x3d64c772, v26
	;; [unrolled: 1-line block ×3, first 2 shown]
	v_dual_fmamk_f32 v5, v14, 0x3eae86e6, v5 :: v_dual_add_f32 v2, v0, v162
	v_add_f32_e32 v29, v1, v176
	v_dual_fmac_f32 v3, 0x3ee1c552, v202 :: v_dual_fmac_f32 v30, 0x3ee1c552, v161
	v_fmac_f32_e32 v180, 0x3ee1c552, v161
	v_add_f32_e32 v4, v4, v162
	v_dual_add_f32 v14, v26, v176 :: v_dual_fmac_f32 v25, 0x3ee1c552, v202
	s_delay_alu instid0(VALU_DEP_4)
	v_dual_fmac_f32 v5, 0x3ee1c552, v161 :: v_dual_add_f32 v0, v3, v2
	v_sub_f32_e32 v1, v29, v30
	v_add_f32_e32 v7, v180, v9
	v_dual_sub_f32 v9, v9, v180 :: v_dual_sub_f32 v2, v2, v3
	v_add_f32_e32 v3, v30, v29
	v_dual_add_f32 v161, v25, v4 :: v_dual_sub_f32 v162, v14, v5
	v_dual_sub_f32 v25, v4, v25 :: v_dual_add_f32 v26, v5, v14
	ds_store_b64 v234, v[0:1] offset:12544
	ds_store_b64 v234, v[6:7] offset:18816
	;; [unrolled: 1-line block ×6, first 2 shown]
	ds_store_2addr_b64 v234, v[19:20], v[17:18] offset1:196
	v_sub_f32_e32 v6, v165, v153
	v_sub_f32_e32 v8, v239, v158
	;; [unrolled: 1-line block ×3, first 2 shown]
	v_dual_sub_f32 v0, v159, v160 :: v_dual_sub_f32 v1, v13, v22
	v_dual_sub_f32 v3, v190, v10 :: v_dual_sub_f32 v10, v48, v36
	v_sub_f32_e32 v7, v21, v164
	v_sub_f32_e32 v19, v36, v44
	;; [unrolled: 1-line block ×3, first 2 shown]
	v_add_f32_e32 v22, v0, v8
	v_sub_f32_e32 v23, v0, v8
	v_dual_sub_f32 v25, v6, v0 :: v_dual_add_f32 v0, v1, v9
	v_mul_f32_e32 v10, 0x3f4a47b2, v10
	v_dual_fmamk_f32 v4, v56, 0xbf955555, v17 :: v_dual_sub_f32 v21, v38, v39
	v_mul_f32_e32 v20, 0x3f4a47b2, v20
	s_delay_alu instid0(VALU_DEP_4) | instskip(NEXT) | instid1(VALU_DEP_4)
	v_add_f32_e32 v30, v0, v7
	v_fmamk_f32 v0, v19, 0x3d64c772, v10
	v_fmamk_f32 v5, v52, 0xbf955555, v18
	v_dual_sub_f32 v17, v151, v191 :: v_dual_sub_f32 v18, v168, v192
	s_delay_alu instid0(VALU_DEP_3) | instskip(SKIP_4) | instid1(VALU_DEP_4)
	v_dual_sub_f32 v2, v189, v150 :: v_dual_add_f32 v31, v0, v4
	v_dual_fmamk_f32 v0, v21, 0x3d64c772, v20 :: v_dual_sub_f32 v13, v152, v198
	v_sub_f32_e32 v14, v166, v238
	v_sub_f32_e32 v26, v1, v9
	;; [unrolled: 1-line block ×3, first 2 shown]
	v_add_f32_e32 v32, v0, v5
	v_sub_f32_e32 v0, v35, v42
	v_sub_f32_e32 v38, v42, v41
	v_sub_f32_e32 v1, v34, v46
	v_sub_f32_e32 v52, v2, v17
	s_delay_alu instid0(VALU_DEP_4)
	v_dual_sub_f32 v148, v3, v18 :: v_dual_mul_f32 v151, 0x3f4a47b2, v0
	v_dual_mul_f32 v23, 0xbf08b237, v23 :: v_dual_mul_f32 v26, 0xbf08b237, v26
	v_sub_f32_e32 v42, v46, v45
	v_add_f32_e32 v46, v2, v17
	v_sub_f32_e32 v56, v13, v2
	v_dual_add_f32 v2, v3, v18 :: v_dual_sub_f32 v149, v14, v3
	v_mul_f32_e32 v152, 0x3f4a47b2, v1
	v_mul_f32_e32 v52, 0xbf08b237, v52
	;; [unrolled: 1-line block ×3, first 2 shown]
	v_fmamk_f32 v43, v43, 0xbf955555, v15
	v_fmamk_f32 v0, v38, 0x3d64c772, v151
	v_dual_add_f32 v22, v22, v6 :: v_dual_fmamk_f32 v33, v25, 0x3eae86e6, v23
	v_fmamk_f32 v36, v29, 0x3eae86e6, v26
	v_add_f32_e32 v46, v46, v13
	v_dual_add_f32 v150, v2, v14 :: v_dual_fmamk_f32 v47, v47, 0xbf955555, v16
	v_dual_add_f32 v153, v0, v43 :: v_dual_fmamk_f32 v0, v42, 0x3d64c772, v152
	v_fmamk_f32 v159, v149, 0x3eae86e6, v148
	v_fmamk_f32 v160, v56, 0x3eae86e6, v52
	v_fmac_f32_e32 v33, 0x3ee1c552, v22
	v_fmac_f32_e32 v36, 0x3ee1c552, v30
	s_delay_alu instid0(VALU_DEP_4) | instskip(NEXT) | instid1(VALU_DEP_4)
	v_dual_add_f32 v158, v0, v47 :: v_dual_fmac_f32 v159, 0x3ee1c552, v150
	v_fmac_f32_e32 v160, 0x3ee1c552, v46
	v_dual_sub_f32 v6, v8, v6 :: v_dual_sub_f32 v7, v9, v7
	s_delay_alu instid0(VALU_DEP_4) | instskip(SKIP_1) | instid1(VALU_DEP_4)
	v_add_f32_e32 v0, v36, v31
	v_sub_f32_e32 v1, v32, v33
	v_dual_add_f32 v2, v159, v153 :: v_dual_sub_f32 v3, v158, v160
	v_add_nc_u32_e32 v202, 0x1e00, v234
	v_dual_sub_f32 v8, v44, v48 :: v_dual_mul_f32 v9, 0xbf5ff5aa, v6
	v_sub_f32_e32 v13, v17, v13
	v_dual_mul_f32 v17, 0xbf5ff5aa, v7 :: v_dual_sub_f32 v14, v18, v14
	ds_store_2addr_b64 v202, v[0:1], v[2:3] offset0:20 offset1:216
	v_sub_f32_e32 v39, v39, v40
	v_fmac_f32_e32 v9, 0xbeae86e6, v25
	v_fmac_f32_e32 v17, 0xbeae86e6, v29
	v_sub_f32_e32 v25, v41, v35
	v_dual_sub_f32 v29, v45, v34 :: v_dual_mul_f32 v18, 0xbf5ff5aa, v13
	v_mul_f32_e32 v34, 0xbf5ff5aa, v14
	v_fma_f32 v0, 0xbf3bfb3b, v8, -v10
	v_fma_f32 v1, 0xbf3bfb3b, v39, -v20
	s_delay_alu instid0(VALU_DEP_4)
	v_fma_f32 v2, 0xbf3bfb3b, v29, -v152
	v_fmac_f32_e32 v18, 0xbeae86e6, v56
	v_fmac_f32_e32 v34, 0xbeae86e6, v149
	v_add_f32_e32 v10, v0, v4
	v_fma_f32 v0, 0xbf3bfb3b, v25, -v151
	v_dual_add_f32 v20, v1, v5 :: v_dual_fmac_f32 v9, 0x3ee1c552, v22
	v_dual_fmac_f32 v17, 0x3ee1c552, v30 :: v_dual_add_f32 v40, v2, v47
	s_delay_alu instid0(VALU_DEP_3) | instskip(SKIP_1) | instid1(VALU_DEP_3)
	v_dual_add_f32 v35, v0, v43 :: v_dual_fmac_f32 v34, 0x3ee1c552, v150
	v_fmac_f32_e32 v18, 0x3ee1c552, v46
	v_dual_add_f32 v0, v17, v10 :: v_dual_sub_f32 v1, v20, v9
	v_add_nc_u32_e32 v198, 0x3600, v234
	s_delay_alu instid0(VALU_DEP_3)
	v_dual_add_f32 v2, v34, v35 :: v_dual_sub_f32 v3, v40, v18
	v_fma_f32 v6, 0x3f5ff5aa, v6, -v23
	v_fma_f32 v7, 0x3f5ff5aa, v7, -v26
	;; [unrolled: 1-line block ×3, first 2 shown]
	v_add_nc_u32_e32 v200, 0x6800, v234
	ds_store_2addr_b64 v198, v[0:1], v[2:3] offset0:36 offset1:232
	v_dual_mul_f32 v0, 0x3d64c772, v19 :: v_dual_mul_f32 v1, 0x3d64c772, v21
	v_fmac_f32_e32 v6, 0x3ee1c552, v22
	v_fmac_f32_e32 v7, 0x3ee1c552, v30
	;; [unrolled: 1-line block ×3, first 2 shown]
	s_delay_alu instid0(VALU_DEP_4) | instskip(SKIP_4) | instid1(VALU_DEP_4)
	v_fma_f32 v0, 0x3f3bfb3b, v8, -v0
	v_fma_f32 v1, 0x3f3bfb3b, v39, -v1
	;; [unrolled: 1-line block ×3, first 2 shown]
	v_add_nc_u32_e32 v39, 0x8000, v234
	v_add_nc_u32_e32 v176, 0x5400, v234
	v_dual_add_f32 v4, v0, v4 :: v_dual_add_f32 v5, v1, v5
	v_mul_f32_e32 v0, 0x3d64c772, v38
	v_mul_f32_e32 v1, 0x3d64c772, v42
	v_fmac_f32_e32 v8, 0x3ee1c552, v150
	v_add_nc_u32_e32 v38, 0x4e00, v234
	v_add_nc_u32_e32 v168, 0x9e00, v234
	v_fma_f32 v0, 0x3f3bfb3b, v25, -v0
	v_fma_f32 v1, 0x3f3bfb3b, v29, -v1
	s_delay_alu instid0(VALU_DEP_2) | instskip(NEXT) | instid1(VALU_DEP_2)
	v_add_f32_e32 v14, v0, v43
	v_add_f32_e32 v19, v1, v47
	v_dual_sub_f32 v0, v4, v7 :: v_dual_add_f32 v1, v6, v5
	s_delay_alu instid0(VALU_DEP_2)
	v_dual_sub_f32 v2, v14, v8 :: v_dual_add_f32 v3, v13, v19
	ds_store_2addr_b64 v38, v[0:1], v[2:3] offset0:52 offset1:248
	v_dual_add_f32 v0, v7, v4 :: v_dual_sub_f32 v1, v5, v6
	v_dual_add_f32 v2, v8, v14 :: v_dual_sub_f32 v3, v19, v13
	v_sub_f32_e32 v6, v167, v169
	v_dual_sub_f32 v4, v177, v154 :: v_dual_sub_f32 v7, v170, v28
	v_sub_f32_e32 v13, v54, v53
	ds_store_2addr_b64 v200, v[0:1], v[2:3] offset0:4 offset1:200
	v_dual_sub_f32 v0, v10, v17 :: v_dual_add_f32 v1, v9, v20
	v_dual_sub_f32 v2, v35, v34 :: v_dual_add_f32 v3, v18, v40
	v_fmamk_f32 v8, v51, 0xbf955555, v11
	v_fmamk_f32 v9, v55, 0xbf955555, v12
	v_sub_f32_e32 v5, v27, v157
	v_sub_f32_e32 v10, v49, v37
	ds_store_2addr_b64 v39, v[0:1], v[2:3] offset0:20 offset1:216
	v_sub_f32_e32 v0, v31, v36
	v_add_f32_e32 v1, v33, v32
	v_dual_sub_f32 v2, v153, v159 :: v_dual_add_f32 v3, v160, v158
	v_add_nc_u32_e32 v36, 0x9800, v234
	ds_store_2addr_b64 v36, v[0:1], v[2:3] offset0:36 offset1:232
	ds_store_2addr_b64 v197, v[15:16], v[11:12] offset0:8 offset1:204
	v_dual_sub_f32 v0, v175, v155 :: v_dual_sub_f32 v1, v24, v156
	v_dual_sub_f32 v11, v50, v49 :: v_dual_sub_f32 v12, v53, v59
	v_sub_f32_e32 v22, v4, v6
	s_delay_alu instid0(VALU_DEP_3) | instskip(SKIP_2) | instid1(VALU_DEP_3)
	v_add_f32_e32 v2, v6, v0
	v_sub_f32_e32 v3, v6, v0
	v_dual_sub_f32 v15, v7, v1 :: v_dual_sub_f32 v14, v0, v4
	v_dual_add_f32 v0, v7, v1 :: v_dual_add_f32 v17, v2, v4
	v_mul_f32_e32 v2, 0x3d64c772, v13
	v_dual_sub_f32 v16, v1, v5 :: v_dual_mul_f32 v1, 0x3d64c772, v11
	s_delay_alu instid0(VALU_DEP_4) | instskip(SKIP_1) | instid1(VALU_DEP_4)
	v_mul_f32_e32 v15, 0xbf08b237, v15
	v_mul_f32_e32 v19, 0xbf08b237, v3
	v_fma_f32 v2, 0x3f3bfb3b, v12, -v2
	v_add_f32_e32 v18, v0, v5
	v_fma_f32 v1, 0x3f3bfb3b, v10, -v1
	v_sub_f32_e32 v23, v5, v7
	v_fma_f32 v21, 0x3f5ff5aa, v14, -v19
	v_add_f32_e32 v20, v2, v9
	v_fma_f32 v2, 0x3f5ff5aa, v16, -v15
	v_add_f32_e32 v3, v1, v8
	v_mul_f32_e32 v6, 0xbf5ff5aa, v16
	v_fmac_f32_e32 v21, 0x3ee1c552, v17
	v_mul_f32_e32 v7, 0xbf5ff5aa, v14
	v_fmac_f32_e32 v2, 0x3ee1c552, v18
	v_add_nc_u32_e32 v35, 0x4800, v234
	s_delay_alu instid0(VALU_DEP_4) | instskip(NEXT) | instid1(VALU_DEP_4)
	v_dual_fmac_f32 v6, 0xbeae86e6, v23 :: v_dual_add_f32 v1, v21, v20
	v_fmac_f32_e32 v7, 0xbeae86e6, v22
	s_delay_alu instid0(VALU_DEP_4)
	v_sub_f32_e32 v0, v3, v2
	v_dual_add_f32 v2, v2, v3 :: v_dual_sub_f32 v3, v20, v21
	v_sub_f32_e32 v20, v37, v50
	v_sub_f32_e32 v21, v59, v54
	v_dual_fmac_f32 v6, 0x3ee1c552, v18 :: v_dual_fmac_f32 v7, 0x3ee1c552, v17
	v_add_nc_u32_e32 v34, 0x6200, v234
	s_delay_alu instid0(VALU_DEP_3) | instskip(SKIP_3) | instid1(VALU_DEP_4)
	v_dual_mul_f32 v20, 0x3f4a47b2, v20 :: v_dual_mul_f32 v21, 0x3f4a47b2, v21
	v_mov_b32_e32 v33, v249
	v_add_nc_u32_e32 v169, 0x9200, v234
	v_add_nc_u32_e32 v177, 0x3c00, v234
	v_fma_f32 v4, 0xbf3bfb3b, v10, -v20
	v_fma_f32 v5, 0xbf3bfb3b, v12, -v21
	v_add_nc_u32_e32 v175, 0x6e00, v234
	v_add_nc_u32_e32 v170, 0x8600, v234
	s_delay_alu instid0(VALU_DEP_4) | instskip(NEXT) | instid1(VALU_DEP_4)
	v_add_f32_e32 v10, v4, v8
	v_add_f32_e32 v12, v5, v9
	s_delay_alu instid0(VALU_DEP_1) | instskip(SKIP_4) | instid1(VALU_DEP_3)
	v_dual_add_f32 v4, v6, v10 :: v_dual_sub_f32 v5, v12, v7
	v_dual_sub_f32 v6, v10, v6 :: v_dual_add_f32 v7, v7, v12
	v_dual_fmamk_f32 v10, v11, 0x3d64c772, v20 :: v_dual_fmamk_f32 v11, v13, 0x3d64c772, v21
	v_fmamk_f32 v12, v23, 0x3eae86e6, v15
	v_fmamk_f32 v13, v22, 0x3eae86e6, v19
	v_dual_add_f32 v10, v10, v8 :: v_dual_add_f32 v11, v11, v9
	s_delay_alu instid0(VALU_DEP_2) | instskip(NEXT) | instid1(VALU_DEP_1)
	v_dual_fmac_f32 v12, 0x3ee1c552, v18 :: v_dual_fmac_f32 v13, 0x3ee1c552, v17
	v_dual_add_f32 v8, v12, v10 :: v_dual_sub_f32 v9, v11, v13
	v_dual_sub_f32 v10, v10, v12 :: v_dual_add_f32 v11, v13, v11
	ds_store_b64 v234, v[4:5] offset:17248
	ds_store_b64 v234, v[0:1] offset:23520
	;; [unrolled: 1-line block ×6, first 2 shown]
	s_waitcnt lgkmcnt(0)
	s_barrier
	buffer_gl0_inv
	global_load_b64 v[4:5], v[219:220], off offset:2944
	ds_load_2addr_b64 v[0:3], v234 offset1:196
	s_waitcnt vmcnt(0) lgkmcnt(0)
	v_mul_f32_e32 v6, v1, v5
	v_mul_f32_e32 v7, v0, v5
	s_delay_alu instid0(VALU_DEP_2) | instskip(NEXT) | instid1(VALU_DEP_2)
	v_fma_f32 v6, v0, v4, -v6
	v_fmac_f32_e32 v7, v1, v4
	v_add_co_u32 v4, vcc_lo, 0xab80, v254
	v_add_co_ci_u32_e32 v5, vcc_lo, 0, v255, vcc_lo
	ds_store_b64 v234, v[6:7]
	v_add_co_u32 v6, vcc_lo, 0xc000, v254
	global_load_b64 v[0:1], v[4:5], off offset:1568
	v_add_co_ci_u32_e32 v7, vcc_lo, 0, v255, vcc_lo
	global_load_b64 v[10:11], v[6:7], off offset:1024
	s_waitcnt vmcnt(1)
	v_mul_f32_e32 v8, v3, v1
	v_mul_f32_e32 v29, v2, v1
	s_delay_alu instid0(VALU_DEP_2) | instskip(NEXT) | instid1(VALU_DEP_2)
	v_fma_f32 v28, v2, v0, -v8
	v_fmac_f32_e32 v29, v3, v0
	ds_load_2addr_b64 v[0:3], v248 offset0:16 offset1:212
	s_waitcnt vmcnt(0) lgkmcnt(0)
	v_mul_f32_e32 v8, v1, v11
	v_mul_f32_e32 v13, v0, v11
	s_delay_alu instid0(VALU_DEP_2) | instskip(NEXT) | instid1(VALU_DEP_2)
	v_fma_f32 v12, v0, v10, -v8
	v_fmac_f32_e32 v13, v1, v10
	global_load_b64 v[0:1], v[6:7], off offset:2592
	v_add_co_u32 v10, vcc_lo, 0xd000, v254
	v_add_co_ci_u32_e32 v11, vcc_lo, 0, v255, vcc_lo
	s_clause 0x2
	global_load_b64 v[14:15], v[10:11], off offset:3200
	global_load_b64 v[4:5], v[4:5], off offset:3136
	;; [unrolled: 1-line block ×3, first 2 shown]
	s_waitcnt vmcnt(3)
	v_mul_f32_e32 v6, v3, v1
	v_mul_f32_e32 v9, v2, v1
	s_delay_alu instid0(VALU_DEP_2) | instskip(NEXT) | instid1(VALU_DEP_2)
	v_fma_f32 v8, v2, v0, -v6
	v_fmac_f32_e32 v9, v3, v0
	ds_load_2addr_b64 v[0:3], v249 offset0:32 offset1:228
	s_waitcnt vmcnt(2) lgkmcnt(0)
	v_dual_mul_f32 v6, v1, v15 :: v_dual_add_nc_u32 v249, 0x7a00, v234
	v_mul_f32_e32 v17, v0, v15
	s_delay_alu instid0(VALU_DEP_2) | instskip(NEXT) | instid1(VALU_DEP_2)
	v_fma_f32 v16, v0, v14, -v6
	v_fmac_f32_e32 v17, v1, v14
	v_add_co_u32 v14, vcc_lo, 0xe000, v254
	v_add_co_ci_u32_e32 v15, vcc_lo, 0, v255, vcc_lo
	v_add_co_u32 v20, vcc_lo, 0xf000, v254
	v_add_co_ci_u32_e32 v21, vcc_lo, 0, v255, vcc_lo
	s_clause 0x1
	global_load_b64 v[0:1], v[14:15], off offset:672
	global_load_b64 v[22:23], v[20:21], off offset:1280
	s_waitcnt vmcnt(1)
	v_mul_f32_e32 v6, v3, v1
	v_mul_f32_e32 v19, v2, v1
	s_delay_alu instid0(VALU_DEP_2) | instskip(NEXT) | instid1(VALU_DEP_2)
	v_fma_f32 v18, v2, v0, -v6
	v_fmac_f32_e32 v19, v3, v0
	ds_load_2addr_b64 v[0:3], v35 offset0:48 offset1:244
	s_waitcnt vmcnt(0) lgkmcnt(0)
	v_mul_f32_e32 v6, v1, v23
	v_mul_f32_e32 v25, v0, v23
	s_delay_alu instid0(VALU_DEP_2) | instskip(NEXT) | instid1(VALU_DEP_2)
	v_fma_f32 v24, v0, v22, -v6
	v_fmac_f32_e32 v25, v1, v22
	global_load_b64 v[0:1], v[20:21], off offset:2848
	v_add_co_u32 v22, vcc_lo, 0x10000, v254
	v_add_co_ci_u32_e32 v23, vcc_lo, 0, v255, vcc_lo
	global_load_b64 v[26:27], v[22:23], off offset:3456
	s_waitcnt vmcnt(1)
	v_mul_f32_e32 v6, v3, v1
	v_mul_f32_e32 v21, v2, v1
	s_delay_alu instid0(VALU_DEP_2) | instskip(NEXT) | instid1(VALU_DEP_2)
	v_fma_f32 v20, v2, v0, -v6
	v_fmac_f32_e32 v21, v3, v0
	ds_load_2addr_b64 v[0:3], v34 offset1:196
	s_waitcnt vmcnt(0) lgkmcnt(0)
	v_mul_f32_e32 v6, v1, v27
	v_mul_f32_e32 v149, v0, v27
	s_delay_alu instid0(VALU_DEP_2) | instskip(NEXT) | instid1(VALU_DEP_2)
	v_fma_f32 v148, v0, v26, -v6
	v_fmac_f32_e32 v149, v1, v26
	v_add_co_u32 v26, vcc_lo, 0x11000, v254
	v_add_co_ci_u32_e32 v27, vcc_lo, 0, v255, vcc_lo
	v_add_co_u32 v152, vcc_lo, 0x12000, v254
	v_add_co_ci_u32_e32 v153, vcc_lo, 0, v255, vcc_lo
	s_clause 0x1
	global_load_b64 v[0:1], v[26:27], off offset:928
	global_load_b64 v[154:155], v[152:153], off offset:1536
	s_waitcnt vmcnt(1)
	v_mul_f32_e32 v6, v3, v1
	v_mul_f32_e32 v151, v2, v1
	s_delay_alu instid0(VALU_DEP_2) | instskip(NEXT) | instid1(VALU_DEP_2)
	v_fma_f32 v150, v2, v0, -v6
	v_fmac_f32_e32 v151, v3, v0
	ds_load_2addr_b64 v[0:3], v249 offset0:16 offset1:212
	s_waitcnt vmcnt(0) lgkmcnt(0)
	v_mul_f32_e32 v6, v1, v155
	v_mul_f32_e32 v157, v0, v155
	s_delay_alu instid0(VALU_DEP_2) | instskip(NEXT) | instid1(VALU_DEP_2)
	v_fma_f32 v156, v0, v154, -v6
	v_fmac_f32_e32 v157, v1, v154
	global_load_b64 v[0:1], v[152:153], off offset:3104
	v_add_co_u32 v154, vcc_lo, 0x13000, v254
	v_add_co_ci_u32_e32 v155, vcc_lo, 0, v255, vcc_lo
	s_clause 0x1
	global_load_b64 v[158:159], v[154:155], off offset:3712
	global_load_b64 v[30:31], v[154:155], off offset:576
	s_waitcnt vmcnt(2)
	v_mul_f32_e32 v6, v3, v1
	v_mul_f32_e32 v153, v2, v1
	s_delay_alu instid0(VALU_DEP_2) | instskip(NEXT) | instid1(VALU_DEP_2)
	v_fma_f32 v152, v2, v0, -v6
	v_fmac_f32_e32 v153, v3, v0
	ds_load_2addr_b64 v[0:3], v169 offset0:32 offset1:228
	s_waitcnt vmcnt(1) lgkmcnt(0)
	v_mul_f32_e32 v6, v1, v159
	v_mul_f32_e32 v161, v0, v159
	s_delay_alu instid0(VALU_DEP_2) | instskip(NEXT) | instid1(VALU_DEP_2)
	v_fma_f32 v160, v0, v158, -v6
	v_fmac_f32_e32 v161, v1, v158
	v_add_co_u32 v158, vcc_lo, 0x14000, v254
	v_add_co_ci_u32_e32 v159, vcc_lo, 0, v255, vcc_lo
	global_load_b64 v[0:1], v[158:159], off offset:1184
	s_waitcnt vmcnt(0)
	v_mul_f32_e32 v6, v3, v1
	v_mul_f32_e32 v163, v2, v1
	s_delay_alu instid0(VALU_DEP_2) | instskip(NEXT) | instid1(VALU_DEP_2)
	v_fma_f32 v162, v2, v0, -v6
	v_fmac_f32_e32 v163, v3, v0
	ds_load_2addr_b64 v[0:3], v197 offset0:8 offset1:204
	s_waitcnt lgkmcnt(0)
	v_mul_f32_e32 v6, v1, v5
	v_mul_f32_e32 v165, v0, v5
	s_delay_alu instid0(VALU_DEP_2) | instskip(SKIP_1) | instid1(VALU_DEP_3)
	v_fma_f32 v164, v0, v4, -v6
	v_add_co_u32 v0, vcc_lo, 0xb000, v254
	v_fmac_f32_e32 v165, v1, v4
	v_add_co_ci_u32_e32 v1, vcc_lo, 0, v255, vcc_lo
	global_load_b64 v[0:1], v[0:1], off offset:3552
	s_waitcnt vmcnt(0)
	v_mul_f32_e32 v4, v3, v1
	v_mul_f32_e32 v7, v2, v1
	s_delay_alu instid0(VALU_DEP_2) | instskip(NEXT) | instid1(VALU_DEP_2)
	v_fma_f32 v6, v2, v0, -v4
	v_fmac_f32_e32 v7, v3, v0
	ds_load_2addr_b64 v[0:3], v237 offset0:24 offset1:220
	s_waitcnt lgkmcnt(0)
	v_mul_f32_e32 v4, v1, v220
	v_mul_f32_e32 v190, v0, v220
	s_delay_alu instid0(VALU_DEP_2) | instskip(NEXT) | instid1(VALU_DEP_2)
	v_fma_f32 v189, v0, v219, -v4
	v_fmac_f32_e32 v190, v1, v219
	s_clause 0x1
	global_load_b64 v[0:1], v[10:11], off offset:1632
	global_load_b64 v[219:220], v[14:15], off offset:2240
	s_waitcnt vmcnt(1)
	v_mul_f32_e32 v4, v3, v1
	v_mul_f32_e32 v11, v2, v1
	s_delay_alu instid0(VALU_DEP_2) | instskip(NEXT) | instid1(VALU_DEP_2)
	v_fma_f32 v10, v2, v0, -v4
	v_fmac_f32_e32 v11, v3, v0
	ds_load_2addr_b64 v[0:3], v177 offset0:40 offset1:236
	s_waitcnt vmcnt(0) lgkmcnt(0)
	v_mul_f32_e32 v4, v1, v220
	v_mul_f32_e32 v192, v0, v220
	s_delay_alu instid0(VALU_DEP_2) | instskip(NEXT) | instid1(VALU_DEP_2)
	v_fma_f32 v191, v0, v219, -v4
	v_fmac_f32_e32 v192, v1, v219
	s_clause 0x1
	global_load_b64 v[0:1], v[14:15], off offset:3808
	global_load_b64 v[219:220], v[22:23], off offset:320
	s_waitcnt vmcnt(1)
	v_mul_f32_e32 v4, v3, v1
	v_mul_f32_e32 v15, v2, v1
	s_delay_alu instid0(VALU_DEP_2) | instskip(NEXT) | instid1(VALU_DEP_2)
	v_fma_f32 v14, v2, v0, -v4
	v_fmac_f32_e32 v15, v3, v0
	ds_load_2addr_b64 v[0:3], v176 offset0:56 offset1:252
	s_waitcnt vmcnt(0) lgkmcnt(0)
	;; [unrolled: 16-line block ×3, first 2 shown]
	v_mul_f32_e32 v4, v1, v220
	v_mul_f32_e32 v5, v0, v220
	s_delay_alu instid0(VALU_DEP_2) | instskip(NEXT) | instid1(VALU_DEP_2)
	v_fma_f32 v4, v0, v219, -v4
	v_fmac_f32_e32 v5, v1, v219
	global_load_b64 v[0:1], v[26:27], off offset:4064
	s_waitcnt vmcnt(0)
	v_mul_f32_e32 v26, v3, v1
	v_mul_f32_e32 v27, v2, v1
	s_delay_alu instid0(VALU_DEP_2) | instskip(NEXT) | instid1(VALU_DEP_2)
	v_fma_f32 v26, v2, v0, -v26
	v_fmac_f32_e32 v27, v3, v0
	ds_load_2addr_b64 v[0:3], v170 offset0:24 offset1:220
	s_waitcnt lgkmcnt(0)
	v_mul_f32_e32 v32, v1, v31
	v_mul_f32_e32 v220, v0, v31
	s_delay_alu instid0(VALU_DEP_2) | instskip(NEXT) | instid1(VALU_DEP_2)
	v_fma_f32 v219, v0, v30, -v32
	v_fmac_f32_e32 v220, v1, v30
	s_clause 0x1
	global_load_b64 v[0:1], v[154:155], off offset:2144
	global_load_b64 v[154:155], v[158:159], off offset:2752
	s_waitcnt vmcnt(1)
	v_mul_f32_e32 v30, v3, v1
	v_mul_f32_e32 v31, v2, v1
	s_delay_alu instid0(VALU_DEP_2) | instskip(NEXT) | instid1(VALU_DEP_2)
	v_fma_f32 v30, v2, v0, -v30
	v_fmac_f32_e32 v31, v3, v0
	ds_load_2addr_b64 v[0:3], v168 offset0:40 offset1:236
	s_waitcnt vmcnt(0) lgkmcnt(0)
	v_mul_f32_e32 v32, v1, v155
	v_mul_f32_e32 v159, v0, v155
	s_delay_alu instid0(VALU_DEP_2) | instskip(SKIP_1) | instid1(VALU_DEP_3)
	v_fma_f32 v158, v0, v154, -v32
	v_add_co_u32 v0, vcc_lo, 0x15000, v254
	v_fmac_f32_e32 v159, v1, v154
	v_add_co_ci_u32_e32 v1, vcc_lo, 0, v255, vcc_lo
	global_load_b64 v[0:1], v[0:1], off offset:224
	s_waitcnt vmcnt(0)
	v_mul_f32_e32 v32, v3, v1
	v_mul_f32_e32 v155, v2, v1
	s_delay_alu instid0(VALU_DEP_2) | instskip(NEXT) | instid1(VALU_DEP_2)
	v_fma_f32 v154, v2, v0, -v32
	v_dual_fmac_f32 v155, v3, v0 :: v_dual_add_nc_u32 v0, 0x600, v234
	ds_store_2addr_b64 v0, v[28:29], v[164:165] offset0:4 offset1:200
	v_add_nc_u32_e32 v0, 0x1200, v234
	ds_store_2addr_b64 v0, v[6:7], v[12:13] offset0:12 offset1:208
	v_add_nc_u32_e32 v0, 0x2a00, v234
	;; [unrolled: 2-line block ×6, first 2 shown]
	ds_store_2addr_b64 v0, v[30:31], v[160:161] offset0:28 offset1:224
	ds_store_2addr_b64 v202, v[8:9], v[189:190] offset0:20 offset1:216
	;; [unrolled: 1-line block ×7, first 2 shown]
	ds_store_b64 v234, v[154:155] offset:42336
	s_waitcnt lgkmcnt(0)
	s_barrier
	buffer_gl0_inv
	ds_load_2addr_b64 v[0:3], v248 offset0:16 offset1:212
	ds_load_2addr_b64 v[4:7], v169 offset0:32 offset1:228
	v_dual_mov_b32 v191, v33 :: v_dual_mov_b32 v192, v38
	v_dual_mov_b32 v219, v39 :: v_dual_mov_b32 v220, v36
	;; [unrolled: 1-line block ×3, first 2 shown]
	s_waitcnt lgkmcnt(0)
	v_dual_add_f32 v18, v0, v4 :: v_dual_add_f32 v19, v1, v5
	v_dual_sub_f32 v20, v0, v4 :: v_dual_sub_f32 v21, v1, v5
	v_dual_add_f32 v22, v2, v6 :: v_dual_add_f32 v23, v3, v7
	v_dual_sub_f32 v24, v2, v6 :: v_dual_sub_f32 v25, v3, v7
	ds_load_2addr_b64 v[0:3], v33 offset0:32 offset1:228
	ds_load_2addr_b64 v[4:7], v249 offset0:16 offset1:212
	s_waitcnt lgkmcnt(0)
	v_dual_add_f32 v26, v0, v4 :: v_dual_add_f32 v27, v1, v5
	v_dual_sub_f32 v28, v0, v4 :: v_dual_sub_f32 v29, v1, v5
	v_dual_add_f32 v30, v2, v6 :: v_dual_add_f32 v31, v3, v7
	v_dual_sub_f32 v32, v2, v6 :: v_dual_sub_f32 v33, v3, v7
	ds_load_2addr_b64 v[0:3], v35 offset0:48 offset1:244
	ds_load_2addr_b64 v[4:7], v34 offset1:196
	s_waitcnt lgkmcnt(0)
	v_dual_add_f32 v16, v0, v4 :: v_dual_add_f32 v17, v1, v5
	v_dual_sub_f32 v34, v4, v0 :: v_dual_sub_f32 v35, v5, v1
	v_dual_add_f32 v36, v2, v6 :: v_dual_add_f32 v37, v3, v7
	v_dual_sub_f32 v38, v6, v2 :: v_dual_sub_f32 v39, v7, v3
	ds_load_2addr_b64 v[0:3], v237 offset0:24 offset1:220
	ds_load_2addr_b64 v[4:7], v168 offset0:40 offset1:236
	v_dual_sub_f32 v154, v18, v16 :: v_dual_sub_f32 v155, v16, v26
	v_dual_sub_f32 v156, v17, v27 :: v_dual_sub_f32 v157, v34, v28
	s_delay_alu instid0(VALU_DEP_2) | instskip(NEXT) | instid1(VALU_DEP_2)
	v_dual_sub_f32 v159, v35, v29 :: v_dual_mul_f32 v154, 0x3f4a47b2, v154
	v_mul_f32_e32 v157, 0x3f08b237, v157
	s_waitcnt lgkmcnt(0)
	s_delay_alu instid0(VALU_DEP_2)
	v_dual_mul_f32 v159, 0x3f08b237, v159 :: v_dual_add_f32 v40, v0, v4
	v_dual_add_f32 v41, v1, v5 :: v_dual_sub_f32 v42, v0, v4
	v_dual_sub_f32 v43, v1, v5 :: v_dual_add_f32 v0, v2, v6
	v_dual_add_f32 v1, v3, v7 :: v_dual_sub_f32 v2, v2, v6
	v_sub_f32_e32 v3, v3, v7
	ds_load_2addr_b64 v[4:7], v177 offset0:40 offset1:236
	ds_load_2addr_b64 v[8:11], v170 offset0:24 offset1:220
	s_waitcnt lgkmcnt(0)
	v_dual_add_f32 v44, v4, v8 :: v_dual_add_f32 v45, v5, v9
	v_dual_sub_f32 v46, v4, v8 :: v_dual_sub_f32 v47, v5, v9
	v_dual_add_f32 v4, v6, v10 :: v_dual_add_f32 v5, v7, v11
	v_dual_sub_f32 v6, v6, v10 :: v_dual_sub_f32 v7, v7, v11
	ds_load_2addr_b64 v[8:11], v176 offset0:56 offset1:252
	ds_load_2addr_b64 v[12:15], v175 offset0:8 offset1:204
	s_waitcnt lgkmcnt(0)
	v_add_f32_e32 v48, v8, v12
	v_sub_f32_e32 v50, v12, v8
	v_dual_add_f32 v8, v26, v18 :: v_dual_add_f32 v49, v9, v13
	v_dual_sub_f32 v51, v13, v9 :: v_dual_add_f32 v52, v10, v14
	s_delay_alu instid0(VALU_DEP_2) | instskip(SKIP_2) | instid1(VALU_DEP_2)
	v_dual_add_f32 v53, v11, v15 :: v_dual_add_f32 v56, v16, v8
	v_add_f32_e32 v8, v27, v19
	v_dual_sub_f32 v54, v14, v10 :: v_dual_sub_f32 v55, v15, v11
	v_dual_sub_f32 v16, v19, v17 :: v_dual_add_f32 v59, v17, v8
	v_add_f32_e32 v8, v30, v22
	v_dual_add_f32 v17, v34, v28 :: v_dual_sub_f32 v34, v20, v34
	s_delay_alu instid0(VALU_DEP_3) | instskip(SKIP_1) | instid1(VALU_DEP_4)
	v_mul_f32_e32 v161, 0x3f4a47b2, v16
	v_fmamk_f32 v16, v155, 0x3d64c772, v154
	v_add_f32_e32 v148, v36, v8
	v_add_f32_e32 v8, v31, v23
	v_dual_add_f32 v158, v17, v20 :: v_dual_add_f32 v17, v35, v29
	v_sub_f32_e32 v35, v21, v35
	v_fmamk_f32 v165, v34, 0xbeae86e6, v157
	s_delay_alu instid0(VALU_DEP_4) | instskip(SKIP_3) | instid1(VALU_DEP_1)
	v_add_f32_e32 v149, v37, v8
	ds_load_2addr_b64 v[8:11], v234 offset1:196
	v_add_f32_e32 v160, v17, v21
	v_fmamk_f32 v164, v35, 0xbeae86e6, v159
	v_dual_fmac_f32 v165, 0xbee1c552, v158 :: v_dual_fmac_f32 v164, 0xbee1c552, v160
	s_waitcnt lgkmcnt(0)
	v_add_f32_e32 v12, v8, v56
	v_dual_add_f32 v8, v44, v40 :: v_dual_add_f32 v13, v9, v59
	v_dual_add_f32 v14, v10, v148 :: v_dual_add_f32 v15, v11, v149
	s_delay_alu instid0(VALU_DEP_3) | instskip(NEXT) | instid1(VALU_DEP_3)
	v_fmamk_f32 v56, v56, 0xbf955555, v12
	v_add_f32_e32 v150, v48, v8
	s_delay_alu instid0(VALU_DEP_4) | instskip(NEXT) | instid1(VALU_DEP_3)
	v_dual_add_f32 v8, v45, v41 :: v_dual_fmamk_f32 v59, v59, 0xbf955555, v13
	v_add_f32_e32 v162, v16, v56
	s_delay_alu instid0(VALU_DEP_2) | instskip(SKIP_1) | instid1(VALU_DEP_2)
	v_dual_fmamk_f32 v16, v156, 0x3d64c772, v161 :: v_dual_add_f32 v151, v49, v8
	v_add_f32_e32 v8, v4, v0
	v_dual_add_f32 v163, v16, v59 :: v_dual_add_f32 v16, v162, v164
	s_delay_alu instid0(VALU_DEP_2) | instskip(SKIP_1) | instid1(VALU_DEP_3)
	v_add_f32_e32 v152, v52, v8
	v_add_f32_e32 v8, v5, v1
	v_sub_f32_e32 v17, v163, v165
	s_delay_alu instid0(VALU_DEP_2)
	v_add_f32_e32 v153, v53, v8
	ds_load_2addr_b64 v[8:11], v197 offset0:8 offset1:204
	s_waitcnt lgkmcnt(0)
	s_barrier
	buffer_gl0_inv
	scratch_load_b32 v166, off, off offset:264 ; 4-byte Folded Reload
	v_dual_add_f32 v8, v8, v150 :: v_dual_add_f32 v9, v9, v151
	v_dual_add_f32 v10, v10, v152 :: v_dual_add_f32 v11, v11, v153
	s_waitcnt vmcnt(0)
	ds_store_2addr_b64 v166, v[12:13], v[16:17] offset1:1
	v_sub_f32_e32 v12, v26, v18
	v_mul_f32_e32 v18, 0x3d64c772, v155
	v_dual_sub_f32 v16, v28, v20 :: v_dual_sub_f32 v17, v29, v21
	v_sub_f32_e32 v13, v27, v19
	v_mul_f32_e32 v19, 0x3d64c772, v156
	s_delay_alu instid0(VALU_DEP_4)
	v_fma_f32 v18, 0x3f3bfb3b, v12, -v18
	v_fma_f32 v12, 0xbf3bfb3b, v12, -v154
	v_mul_f32_e32 v21, 0x3f5ff5aa, v16
	v_mul_f32_e32 v27, 0x3f5ff5aa, v17
	v_fma_f32 v19, 0x3f3bfb3b, v13, -v19
	v_add_f32_e32 v18, v18, v56
	v_add_f32_e32 v28, v12, v56
	scratch_load_b32 v56, off, off offset:260 ; 4-byte Folded Reload
	v_fma_f32 v13, 0xbf3bfb3b, v13, -v161
	v_fma_f32 v20, 0xbf5ff5aa, v16, -v157
	v_fmac_f32_e32 v21, 0x3eae86e6, v34
	v_fma_f32 v26, 0xbf5ff5aa, v17, -v159
	v_fmac_f32_e32 v27, 0x3eae86e6, v35
	v_add_f32_e32 v19, v19, v59
	v_add_f32_e32 v29, v13, v59
	s_delay_alu instid0(VALU_DEP_4) | instskip(NEXT) | instid1(VALU_DEP_4)
	v_dual_fmac_f32 v21, 0xbee1c552, v158 :: v_dual_fmac_f32 v26, 0xbee1c552, v160
	v_dual_fmac_f32 v27, 0xbee1c552, v160 :: v_dual_fmac_f32 v20, 0xbee1c552, v158
	s_delay_alu instid0(VALU_DEP_2) | instskip(NEXT) | instid1(VALU_DEP_3)
	v_dual_fmamk_f32 v34, v148, 0xbf955555, v14 :: v_dual_sub_f32 v13, v29, v21
	v_sub_f32_e32 v16, v18, v26
	s_delay_alu instid0(VALU_DEP_3)
	v_dual_add_f32 v12, v27, v28 :: v_dual_add_f32 v17, v20, v19
	ds_store_2addr_b64 v166, v[12:13], v[16:17] offset0:2 offset1:3
	v_dual_add_f32 v12, v26, v18 :: v_dual_sub_f32 v13, v19, v20
	v_dual_sub_f32 v16, v28, v27 :: v_dual_add_f32 v17, v21, v29
	v_dual_sub_f32 v19, v38, v32 :: v_dual_sub_f32 v26, v39, v33
	v_add_f32_e32 v18, v38, v32
	v_sub_f32_e32 v20, v24, v38
	ds_store_2addr_b64 v166, v[12:13], v[16:17] offset0:4 offset1:5
	v_dual_sub_f32 v12, v162, v164 :: v_dual_add_f32 v13, v165, v163
	v_dual_sub_f32 v16, v36, v30 :: v_dual_sub_f32 v17, v37, v31
	v_add_f32_e32 v21, v39, v33
	v_sub_f32_e32 v27, v25, v39
	ds_store_b64 v166, v[12:13] offset:48
	v_dual_sub_f32 v12, v22, v36 :: v_dual_sub_f32 v13, v23, v37
	v_dual_mul_f32 v19, 0x3f08b237, v19 :: v_dual_mul_f32 v26, 0x3f08b237, v26
	v_add_f32_e32 v18, v18, v24
	s_delay_alu instid0(VALU_DEP_3) | instskip(SKIP_3) | instid1(VALU_DEP_4)
	v_dual_mul_f32 v28, 0x3f4a47b2, v12 :: v_dual_mul_f32 v29, 0x3f4a47b2, v13
	v_add_f32_e32 v21, v21, v25
	v_fmamk_f32 v36, v149, 0xbf955555, v15
	v_fmamk_f32 v38, v27, 0xbeae86e6, v26
	;; [unrolled: 1-line block ×4, first 2 shown]
	v_mul_f32_e32 v16, 0x3d64c772, v16
	s_delay_alu instid0(VALU_DEP_3) | instskip(SKIP_1) | instid1(VALU_DEP_4)
	v_dual_fmac_f32 v38, 0xbee1c552, v21 :: v_dual_add_f32 v35, v12, v34
	v_fmamk_f32 v12, v17, 0x3d64c772, v29
	v_fmac_f32_e32 v39, 0xbee1c552, v18
	v_mul_f32_e32 v17, 0x3d64c772, v17
	s_delay_alu instid0(VALU_DEP_3) | instskip(NEXT) | instid1(VALU_DEP_1)
	v_dual_add_f32 v37, v12, v36 :: v_dual_add_f32 v12, v35, v38
	v_sub_f32_e32 v13, v37, v39
	s_waitcnt vmcnt(0)
	ds_store_2addr_b64 v56, v[14:15], v[12:13] offset1:1
	v_sub_f32_e32 v12, v30, v22
	scratch_load_b32 v30, off, off offset:240 ; 4-byte Folded Reload
	v_dual_sub_f32 v14, v32, v24 :: v_dual_sub_f32 v15, v33, v25
	v_sub_f32_e32 v13, v31, v23
	v_fma_f32 v16, 0x3f3bfb3b, v12, -v16
	v_fma_f32 v12, 0xbf3bfb3b, v12, -v28
	s_delay_alu instid0(VALU_DEP_4) | instskip(NEXT) | instid1(VALU_DEP_4)
	v_dual_mul_f32 v22, 0x3f5ff5aa, v14 :: v_dual_mul_f32 v23, 0x3f5ff5aa, v15
	v_fma_f32 v17, 0x3f3bfb3b, v13, -v17
	v_fma_f32 v13, 0xbf3bfb3b, v13, -v29
	;; [unrolled: 1-line block ×3, first 2 shown]
	s_delay_alu instid0(VALU_DEP_4) | instskip(SKIP_4) | instid1(VALU_DEP_3)
	v_fmac_f32_e32 v22, 0x3eae86e6, v20
	v_fma_f32 v20, 0xbf5ff5aa, v15, -v26
	v_dual_fmac_f32 v23, 0x3eae86e6, v27 :: v_dual_add_f32 v16, v16, v34
	v_dual_add_f32 v24, v12, v34 :: v_dual_add_f32 v17, v17, v36
	v_add_f32_e32 v25, v13, v36
	v_fmac_f32_e32 v23, 0xbee1c552, v21
	v_fmac_f32_e32 v20, 0xbee1c552, v21
	;; [unrolled: 1-line block ×4, first 2 shown]
	v_sub_f32_e32 v18, v42, v50
	v_add_f32_e32 v12, v23, v24
	s_delay_alu instid0(VALU_DEP_4) | instskip(NEXT) | instid1(VALU_DEP_4)
	v_dual_sub_f32 v14, v16, v20 :: v_dual_sub_f32 v13, v25, v22
	v_add_f32_e32 v15, v19, v17
	v_sub_f32_e32 v21, v43, v51
	v_fmamk_f32 v26, v151, 0xbf955555, v9
	ds_store_2addr_b64 v56, v[12:13], v[14:15] offset0:2 offset1:3
	v_dual_add_f32 v12, v20, v16 :: v_dual_sub_f32 v13, v17, v19
	v_dual_sub_f32 v14, v24, v23 :: v_dual_add_f32 v15, v22, v25
	v_dual_sub_f32 v17, v50, v46 :: v_dual_sub_f32 v20, v51, v47
	v_dual_add_f32 v16, v50, v46 :: v_dual_add_f32 v19, v51, v47
	ds_store_2addr_b64 v56, v[12:13], v[14:15] offset0:4 offset1:5
	v_sub_f32_e32 v12, v35, v38
	v_dual_add_f32 v13, v39, v37 :: v_dual_sub_f32 v14, v48, v44
	v_sub_f32_e32 v15, v49, v45
	v_dual_mul_f32 v17, 0x3f08b237, v17 :: v_dual_mul_f32 v20, 0x3f08b237, v20
	ds_store_b64 v56, v[12:13] offset:48
	v_dual_sub_f32 v12, v40, v48 :: v_dual_sub_f32 v13, v41, v49
	v_fmamk_f32 v24, v150, 0xbf955555, v8
	v_dual_add_f32 v16, v16, v42 :: v_dual_add_f32 v19, v19, v43
	s_delay_alu instid0(VALU_DEP_3) | instskip(SKIP_1) | instid1(VALU_DEP_2)
	v_dual_mul_f32 v22, 0x3f4a47b2, v12 :: v_dual_mul_f32 v23, 0x3f4a47b2, v13
	v_dual_fmamk_f32 v28, v21, 0xbeae86e6, v20 :: v_dual_fmamk_f32 v29, v18, 0xbeae86e6, v17
	v_fmamk_f32 v12, v14, 0x3d64c772, v22
	v_mul_f32_e32 v14, 0x3d64c772, v14
	s_delay_alu instid0(VALU_DEP_3) | instskip(NEXT) | instid1(VALU_DEP_3)
	v_dual_fmac_f32 v28, 0xbee1c552, v19 :: v_dual_fmac_f32 v29, 0xbee1c552, v16
	v_dual_add_f32 v25, v12, v24 :: v_dual_fmamk_f32 v12, v15, 0x3d64c772, v23
	v_mul_f32_e32 v15, 0x3d64c772, v15
	s_delay_alu instid0(VALU_DEP_2) | instskip(NEXT) | instid1(VALU_DEP_1)
	v_dual_add_f32 v27, v12, v26 :: v_dual_add_f32 v12, v25, v28
	v_sub_f32_e32 v13, v27, v29
	s_waitcnt vmcnt(0)
	ds_store_2addr_b64 v30, v[8:9], v[12:13] offset1:1
	v_sub_f32_e32 v8, v44, v40
	v_dual_sub_f32 v12, v46, v42 :: v_dual_sub_f32 v13, v47, v43
	v_sub_f32_e32 v9, v45, v41
	s_delay_alu instid0(VALU_DEP_3) | instskip(SKIP_1) | instid1(VALU_DEP_4)
	v_fma_f32 v14, 0x3f3bfb3b, v8, -v14
	v_fma_f32 v8, 0xbf3bfb3b, v8, -v22
	v_mul_f32_e32 v22, 0x3f5ff5aa, v12
	s_delay_alu instid0(VALU_DEP_4)
	v_fma_f32 v15, 0x3f3bfb3b, v9, -v15
	v_fma_f32 v9, 0xbf3bfb3b, v9, -v23
	;; [unrolled: 1-line block ×3, first 2 shown]
	v_add_f32_e32 v14, v14, v24
	v_fmac_f32_e32 v22, 0x3eae86e6, v18
	v_fma_f32 v18, 0xbf5ff5aa, v13, -v20
	v_dual_mul_f32 v20, 0x3f5ff5aa, v13 :: v_dual_add_f32 v15, v15, v26
	s_delay_alu instid0(VALU_DEP_3) | instskip(NEXT) | instid1(VALU_DEP_3)
	v_dual_add_f32 v23, v9, v26 :: v_dual_fmac_f32 v22, 0xbee1c552, v16
	v_fmac_f32_e32 v18, 0xbee1c552, v19
	s_delay_alu instid0(VALU_DEP_3) | instskip(SKIP_1) | instid1(VALU_DEP_4)
	v_dual_fmac_f32 v20, 0x3eae86e6, v21 :: v_dual_add_f32 v21, v8, v24
	v_fmac_f32_e32 v17, 0xbee1c552, v16
	v_sub_f32_e32 v9, v23, v22
	s_delay_alu instid0(VALU_DEP_4) | instskip(NEXT) | instid1(VALU_DEP_4)
	v_sub_f32_e32 v12, v14, v18
	v_fmac_f32_e32 v20, 0xbee1c552, v19
	s_delay_alu instid0(VALU_DEP_4) | instskip(SKIP_1) | instid1(VALU_DEP_3)
	v_dual_sub_f32 v16, v2, v54 :: v_dual_add_f32 v13, v17, v15
	v_dual_sub_f32 v19, v3, v55 :: v_dual_fmamk_f32 v24, v153, 0xbf955555, v11
	v_add_f32_e32 v8, v20, v21
	ds_store_2addr_b64 v30, v[8:9], v[12:13] offset0:2 offset1:3
	v_dual_add_f32 v8, v18, v14 :: v_dual_sub_f32 v9, v15, v17
	v_dual_sub_f32 v12, v21, v20 :: v_dual_add_f32 v13, v22, v23
	v_dual_sub_f32 v15, v54, v6 :: v_dual_sub_f32 v18, v55, v7
	v_dual_add_f32 v14, v54, v6 :: v_dual_add_f32 v17, v55, v7
	ds_store_2addr_b64 v30, v[8:9], v[12:13] offset0:4 offset1:5
	v_sub_f32_e32 v8, v25, v28
	scratch_load_b32 v28, off, off offset:236 ; 4-byte Folded Reload
	v_dual_add_f32 v9, v29, v27 :: v_dual_sub_f32 v12, v52, v4
	v_sub_f32_e32 v13, v53, v5
	v_dual_mul_f32 v15, 0x3f08b237, v15 :: v_dual_mul_f32 v18, 0x3f08b237, v18
	ds_store_b64 v30, v[8:9] offset:48
	v_dual_sub_f32 v8, v0, v52 :: v_dual_sub_f32 v9, v1, v53
	v_fmamk_f32 v22, v152, 0xbf955555, v10
	v_dual_add_f32 v14, v14, v2 :: v_dual_add_f32 v17, v17, v3
	s_delay_alu instid0(VALU_DEP_3) | instskip(SKIP_2) | instid1(VALU_DEP_3)
	v_dual_mul_f32 v20, 0x3f4a47b2, v8 :: v_dual_mul_f32 v21, 0x3f4a47b2, v9
	v_dual_fmamk_f32 v26, v19, 0xbeae86e6, v18 :: v_dual_fmamk_f32 v27, v16, 0xbeae86e6, v15
	v_sub_f32_e32 v2, v6, v2
	v_dual_fmamk_f32 v8, v12, 0x3d64c772, v20 :: v_dual_sub_f32 v3, v7, v3
	s_delay_alu instid0(VALU_DEP_3) | instskip(SKIP_1) | instid1(VALU_DEP_3)
	v_dual_fmac_f32 v26, 0xbee1c552, v17 :: v_dual_fmac_f32 v27, 0xbee1c552, v14
	v_sub_f32_e32 v0, v4, v0
	v_dual_add_f32 v23, v8, v22 :: v_dual_fmamk_f32 v8, v13, 0x3d64c772, v21
	v_dual_sub_f32 v1, v5, v1 :: v_dual_mul_f32 v4, 0x3d64c772, v12
	v_mul_f32_e32 v5, 0x3d64c772, v13
	v_mul_f32_e32 v7, 0x3f5ff5aa, v2
	s_delay_alu instid0(VALU_DEP_4) | instskip(NEXT) | instid1(VALU_DEP_4)
	v_dual_add_f32 v25, v8, v24 :: v_dual_add_f32 v8, v23, v26
	v_fma_f32 v4, 0x3f3bfb3b, v0, -v4
	v_fma_f32 v0, 0xbf3bfb3b, v0, -v20
	;; [unrolled: 1-line block ×3, first 2 shown]
	s_delay_alu instid0(VALU_DEP_4) | instskip(SKIP_3) | instid1(VALU_DEP_2)
	v_sub_f32_e32 v9, v25, v27
	v_fma_f32 v1, 0xbf3bfb3b, v1, -v21
	v_fma_f32 v6, 0xbf5ff5aa, v2, -v15
	v_dual_fmac_f32 v7, 0x3eae86e6, v16 :: v_dual_add_f32 v4, v4, v22
	v_dual_add_f32 v5, v5, v24 :: v_dual_fmac_f32 v6, 0xbee1c552, v14
	s_delay_alu instid0(VALU_DEP_2)
	v_fmac_f32_e32 v7, 0xbee1c552, v14
	s_waitcnt vmcnt(0)
	ds_store_2addr_b64 v28, v[10:11], v[8:9] offset1:1
	v_mul_f32_e32 v9, 0x3f5ff5aa, v3
	v_fma_f32 v8, 0xbf5ff5aa, v3, -v18
	v_dual_add_f32 v10, v0, v22 :: v_dual_add_f32 v11, v1, v24
	v_add_f32_e32 v3, v6, v5
	s_delay_alu instid0(VALU_DEP_4) | instskip(NEXT) | instid1(VALU_DEP_3)
	v_fmac_f32_e32 v9, 0x3eae86e6, v19
	v_dual_fmac_f32 v8, 0xbee1c552, v17 :: v_dual_sub_f32 v1, v11, v7
	s_delay_alu instid0(VALU_DEP_1) | instskip(NEXT) | instid1(VALU_DEP_1)
	v_dual_fmac_f32 v9, 0xbee1c552, v17 :: v_dual_sub_f32 v2, v4, v8
	v_add_f32_e32 v0, v9, v10
	ds_store_2addr_b64 v28, v[0:1], v[2:3] offset0:2 offset1:3
	v_dual_add_f32 v0, v8, v4 :: v_dual_sub_f32 v1, v5, v6
	v_dual_sub_f32 v2, v10, v9 :: v_dual_add_f32 v3, v7, v11
	ds_store_2addr_b64 v28, v[0:1], v[2:3] offset0:4 offset1:5
	v_sub_f32_e32 v0, v23, v26
	v_add_f32_e32 v1, v27, v25
	ds_store_b64 v28, v[0:1] offset:48
	s_waitcnt lgkmcnt(0)
	s_barrier
	buffer_gl0_inv
	scratch_load_b64 v[4:5], off, off offset:276 ; 8-byte Folded Reload
	ds_load_2addr_b64 v[0:3], v170 offset0:24 offset1:220
	s_waitcnt vmcnt(0) lgkmcnt(0)
	v_mul_f32_e32 v20, v5, v1
	s_delay_alu instid0(VALU_DEP_1) | instskip(SKIP_1) | instid1(VALU_DEP_1)
	v_fmac_f32_e32 v20, v4, v0
	v_mul_f32_e32 v0, v5, v0
	v_fma_f32 v21, v4, v1, -v0
	scratch_load_b64 v[4:5], off, off offset:268 ; 8-byte Folded Reload
	s_waitcnt vmcnt(0)
	v_mul_f32_e32 v22, v5, v3
	v_mul_f32_e32 v0, v5, v2
	s_delay_alu instid0(VALU_DEP_2) | instskip(NEXT) | instid1(VALU_DEP_2)
	v_fmac_f32_e32 v22, v4, v2
	v_fma_f32 v23, v4, v3, -v0
	scratch_load_b64 v[4:5], off, off offset:292 ; 8-byte Folded Reload
	ds_load_2addr_b64 v[0:3], v169 offset0:32 offset1:228
	s_waitcnt vmcnt(0) lgkmcnt(0)
	v_mul_f32_e32 v24, v5, v1
	s_delay_alu instid0(VALU_DEP_1) | instskip(SKIP_1) | instid1(VALU_DEP_1)
	v_fmac_f32_e32 v24, v4, v0
	v_mul_f32_e32 v0, v5, v0
	v_fma_f32 v25, v4, v1, -v0
	scratch_load_b64 v[4:5], off, off offset:284 ; 8-byte Folded Reload
	s_waitcnt vmcnt(0)
	v_mul_f32_e32 v26, v5, v3
	v_mul_f32_e32 v0, v5, v2
	s_delay_alu instid0(VALU_DEP_2) | instskip(NEXT) | instid1(VALU_DEP_2)
	v_fmac_f32_e32 v26, v4, v2
	v_fma_f32 v27, v4, v3, -v0
	scratch_load_b64 v[4:5], off, off offset:324 ; 8-byte Folded Reload
	ds_load_2addr_b64 v[0:3], v168 offset0:40 offset1:236
	s_waitcnt vmcnt(0) lgkmcnt(0)
	v_mul_f32_e32 v28, v5, v1
	s_delay_alu instid0(VALU_DEP_1) | instskip(SKIP_1) | instid1(VALU_DEP_1)
	v_fmac_f32_e32 v28, v4, v0
	v_mul_f32_e32 v0, v5, v0
	v_fma_f32 v29, v4, v1, -v0
	scratch_load_b64 v[4:5], off, off offset:332 ; 8-byte Folded Reload
	s_waitcnt vmcnt(0)
	v_mul_f32_e32 v30, v5, v3
	v_mul_f32_e32 v0, v5, v2
	scratch_load_b64 v[5:6], off, off offset:316 ; 8-byte Folded Reload
	v_fmac_f32_e32 v30, v4, v2
	v_fma_f32 v31, v4, v3, -v0
	ds_load_2addr_b64 v[0:3], v249 offset0:16 offset1:212
	s_waitcnt lgkmcnt(0)
	v_mul_f32_e32 v32, v226, v1
	s_delay_alu instid0(VALU_DEP_1) | instskip(SKIP_1) | instid1(VALU_DEP_1)
	v_fmac_f32_e32 v32, v225, v0
	v_mul_f32_e32 v0, v226, v0
	v_fma_f32 v33, v225, v1, -v0
	s_waitcnt vmcnt(0)
	v_mul_f32_e32 v4, v6, v3
	s_delay_alu instid0(VALU_DEP_1)
	v_fmac_f32_e32 v4, v5, v2
	v_mul_f32_e32 v2, v6, v2
	scratch_load_b128 v[6:9], off, off offset:244 ; 16-byte Folded Reload
	v_fma_f32 v5, v5, v3, -v2
	ds_load_2addr_b64 v[0:3], v190 offset0:48 offset1:244
	s_waitcnt lgkmcnt(0)
	v_mul_f32_e32 v34, v224, v3
	v_mul_f32_e32 v36, v228, v1
	s_delay_alu instid0(VALU_DEP_2) | instskip(SKIP_1) | instid1(VALU_DEP_3)
	v_fmac_f32_e32 v34, v223, v2
	v_mul_f32_e32 v2, v224, v2
	v_fmac_f32_e32 v36, v227, v0
	v_mul_f32_e32 v0, v228, v0
	s_delay_alu instid0(VALU_DEP_3) | instskip(NEXT) | instid1(VALU_DEP_2)
	v_fma_f32 v35, v223, v3, -v2
	v_fma_f32 v37, v227, v1, -v0
	ds_load_2addr_b64 v[0:3], v175 offset0:8 offset1:204
	s_waitcnt lgkmcnt(0)
	v_mul_f32_e32 v38, v230, v3
	v_mul_f32_e32 v40, v243, v1
	s_delay_alu instid0(VALU_DEP_2) | instskip(SKIP_1) | instid1(VALU_DEP_3)
	v_fmac_f32_e32 v38, v229, v2
	v_mul_f32_e32 v2, v230, v2
	v_fmac_f32_e32 v40, v242, v0
	v_mul_f32_e32 v0, v243, v0
	s_delay_alu instid0(VALU_DEP_3) | instskip(NEXT) | instid1(VALU_DEP_2)
	v_fma_f32 v39, v229, v3, -v2
	;; [unrolled: 12-line block ×3, first 2 shown]
	v_fma_f32 v45, v250, v1, -v0
	ds_load_2addr_b64 v[0:3], v189 offset1:196
	s_waitcnt lgkmcnt(0)
	v_mul_f32_e32 v46, v253, v3
	v_mul_f32_e32 v48, v247, v1
	s_delay_alu instid0(VALU_DEP_2) | instskip(SKIP_1) | instid1(VALU_DEP_3)
	v_fmac_f32_e32 v46, v252, v2
	v_mul_f32_e32 v2, v253, v2
	v_fmac_f32_e32 v48, v246, v0
	v_mul_f32_e32 v0, v247, v0
	s_delay_alu instid0(VALU_DEP_3) | instskip(NEXT) | instid1(VALU_DEP_2)
	v_fma_f32 v47, v252, v3, -v2
	v_fma_f32 v49, v246, v1, -v0
	ds_load_2addr_b64 v[0:3], v191 offset0:32 offset1:228
	s_waitcnt lgkmcnt(0)
	v_mul_f32_e32 v50, v245, v3
	s_delay_alu instid0(VALU_DEP_1) | instskip(SKIP_1) | instid1(VALU_DEP_1)
	v_fmac_f32_e32 v50, v244, v2
	v_mul_f32_e32 v2, v245, v2
	v_fma_f32 v51, v244, v3, -v2
	s_waitcnt vmcnt(0)
	v_mul_f32_e32 v52, v7, v1
	s_delay_alu instid0(VALU_DEP_1) | instskip(SKIP_1) | instid1(VALU_DEP_1)
	v_fmac_f32_e32 v52, v6, v0
	v_mul_f32_e32 v0, v7, v0
	v_fma_f32 v53, v6, v1, -v0
	ds_load_2addr_b64 v[0:3], v176 offset0:56 offset1:252
	s_waitcnt lgkmcnt(0)
	v_mul_f32_e32 v54, v9, v3
	s_delay_alu instid0(VALU_DEP_1)
	v_fmac_f32_e32 v54, v8, v2
	v_mul_f32_e32 v2, v9, v2
	scratch_load_b128 v[9:12], off, off offset:300 ; 16-byte Folded Reload
	v_fma_f32 v55, v8, v3, -v2
	s_waitcnt vmcnt(0)
	v_mul_f32_e32 v6, v12, v1
	s_delay_alu instid0(VALU_DEP_1) | instskip(SKIP_1) | instid1(VALU_DEP_1)
	v_fmac_f32_e32 v6, v11, v0
	v_mul_f32_e32 v0, v12, v0
	v_fma_f32 v7, v11, v1, -v0
	ds_load_2addr_b64 v[0:3], v237 offset0:24 offset1:220
	s_waitcnt lgkmcnt(0)
	v_mul_f32_e32 v8, v10, v3
	s_delay_alu instid0(VALU_DEP_1) | instskip(SKIP_1) | instid1(VALU_DEP_2)
	v_fmac_f32_e32 v8, v9, v2
	v_mul_f32_e32 v2, v10, v2
	v_sub_f32_e32 v10, v8, v4
	s_delay_alu instid0(VALU_DEP_2) | instskip(NEXT) | instid1(VALU_DEP_2)
	v_fma_f32 v9, v9, v3, -v2
	v_fma_f32 v8, v8, 2.0, -v10
	s_delay_alu instid0(VALU_DEP_2) | instskip(SKIP_4) | instid1(VALU_DEP_1)
	v_sub_f32_e32 v11, v9, v5
	ds_load_2addr_b64 v[2:5], v234 offset1:196
	v_fma_f32 v9, v9, 2.0, -v11
	s_waitcnt lgkmcnt(0)
	v_dual_sub_f32 v6, v2, v6 :: v_dual_sub_f32 v7, v3, v7
	v_fma_f32 v12, v2, 2.0, -v6
	s_delay_alu instid0(VALU_DEP_2) | instskip(SKIP_1) | instid1(VALU_DEP_2)
	v_fma_f32 v13, v3, 2.0, -v7
	v_dual_add_f32 v14, v6, v11 :: v_dual_sub_f32 v15, v7, v10
	v_dual_sub_f32 v2, v12, v8 :: v_dual_sub_f32 v3, v13, v9
	s_delay_alu instid0(VALU_DEP_2) | instskip(NEXT) | instid1(VALU_DEP_3)
	v_fma_f32 v18, v6, 2.0, -v14
	v_fma_f32 v19, v7, 2.0, -v15
	s_delay_alu instid0(VALU_DEP_3) | instskip(NEXT) | instid1(VALU_DEP_4)
	v_fma_f32 v16, v12, 2.0, -v2
	v_fma_f32 v17, v13, 2.0, -v3
	ds_load_2addr_b64 v[6:9], v197 offset0:8 offset1:204
	ds_load_2addr_b64 v[10:13], v248 offset0:16 offset1:212
	s_waitcnt lgkmcnt(0)
	s_barrier
	buffer_gl0_inv
	scratch_load_b32 v56, off, off offset:344 ; 4-byte Folded Reload
	s_waitcnt vmcnt(0)
	ds_store_2addr_b64 v56, v[16:17], v[18:19] offset1:7
	ds_store_2addr_b64 v56, v[2:3], v[14:15] offset0:14 offset1:21
	scratch_load_b32 v18, off, off offset:340 ; 4-byte Folded Reload
	v_dual_sub_f32 v16, v4, v54 :: v_dual_sub_f32 v17, v5, v55
	s_delay_alu instid0(VALU_DEP_1) | instskip(NEXT) | instid1(VALU_DEP_2)
	v_fma_f32 v14, v4, 2.0, -v16
	v_fma_f32 v15, v5, 2.0, -v17
	v_dual_sub_f32 v5, v52, v20 :: v_dual_sub_f32 v4, v53, v21
	s_delay_alu instid0(VALU_DEP_1) | instskip(NEXT) | instid1(VALU_DEP_2)
	v_fma_f32 v2, v52, 2.0, -v5
	v_fma_f32 v3, v53, 2.0, -v4
	v_dual_add_f32 v4, v16, v4 :: v_dual_sub_f32 v5, v17, v5
	s_delay_alu instid0(VALU_DEP_2) | instskip(NEXT) | instid1(VALU_DEP_2)
	v_dual_sub_f32 v2, v14, v2 :: v_dual_sub_f32 v3, v15, v3
	v_fma_f32 v16, v16, 2.0, -v4
	s_delay_alu instid0(VALU_DEP_3) | instskip(NEXT) | instid1(VALU_DEP_3)
	v_fma_f32 v17, v17, 2.0, -v5
	v_fma_f32 v14, v14, 2.0, -v2
	s_delay_alu instid0(VALU_DEP_4)
	v_fma_f32 v15, v15, 2.0, -v3
	s_waitcnt vmcnt(0)
	ds_store_2addr_b64 v18, v[14:15], v[16:17] offset1:7
	ds_store_2addr_b64 v18, v[2:3], v[4:5] offset0:14 offset1:21
	scratch_load_b32 v16, off, off offset:364 ; 4-byte Folded Reload
	v_dual_sub_f32 v5, v50, v22 :: v_dual_sub_f32 v4, v51, v23
	v_dual_sub_f32 v14, v6, v48 :: v_dual_sub_f32 v15, v7, v49
	s_delay_alu instid0(VALU_DEP_2) | instskip(NEXT) | instid1(VALU_DEP_3)
	v_fma_f32 v2, v50, 2.0, -v5
	v_fma_f32 v3, v51, 2.0, -v4
	s_delay_alu instid0(VALU_DEP_3) | instskip(NEXT) | instid1(VALU_DEP_4)
	v_fma_f32 v6, v6, 2.0, -v14
	v_fma_f32 v7, v7, 2.0, -v15
	v_dual_add_f32 v4, v14, v4 :: v_dual_sub_f32 v5, v15, v5
	s_delay_alu instid0(VALU_DEP_2) | instskip(NEXT) | instid1(VALU_DEP_2)
	v_dual_sub_f32 v2, v6, v2 :: v_dual_sub_f32 v3, v7, v3
	v_fma_f32 v14, v14, 2.0, -v4
	s_delay_alu instid0(VALU_DEP_3) | instskip(NEXT) | instid1(VALU_DEP_3)
	v_fma_f32 v15, v15, 2.0, -v5
	v_fma_f32 v6, v6, 2.0, -v2
	s_delay_alu instid0(VALU_DEP_4)
	v_fma_f32 v7, v7, 2.0, -v3
	s_waitcnt vmcnt(0)
	ds_store_2addr_b64 v16, v[6:7], v[14:15] offset1:7
	ds_store_2addr_b64 v16, v[2:3], v[4:5] offset0:14 offset1:21
	v_sub_f32_e32 v14, v8, v46
	v_sub_f32_e32 v4, v45, v25
	;; [unrolled: 1-line block ×4, first 2 shown]
	s_delay_alu instid0(VALU_DEP_4) | instskip(NEXT) | instid1(VALU_DEP_4)
	v_fma_f32 v6, v8, 2.0, -v14
	v_fma_f32 v3, v45, 2.0, -v4
	v_add_f32_e32 v4, v14, v4
	v_fma_f32 v7, v9, 2.0, -v15
	v_fma_f32 v2, v44, 2.0, -v5
	v_sub_f32_e32 v5, v15, v5
	s_delay_alu instid0(VALU_DEP_4) | instskip(SKIP_3) | instid1(VALU_DEP_2)
	v_fma_f32 v8, v14, 2.0, -v4
	scratch_load_b32 v14, off, off offset:360 ; 4-byte Folded Reload
	v_dual_sub_f32 v2, v6, v2 :: v_dual_sub_f32 v3, v7, v3
	v_fma_f32 v9, v15, 2.0, -v5
	v_fma_f32 v6, v6, 2.0, -v2
	s_delay_alu instid0(VALU_DEP_3)
	v_fma_f32 v7, v7, 2.0, -v3
	s_waitcnt vmcnt(0)
	ds_store_2addr_b64 v14, v[6:7], v[8:9] offset1:7
	ds_store_2addr_b64 v14, v[2:3], v[4:5] offset0:14 offset1:21
	v_sub_f32_e32 v8, v10, v40
	v_dual_sub_f32 v5, v42, v26 :: v_dual_sub_f32 v4, v43, v27
	v_sub_f32_e32 v9, v11, v41
	s_delay_alu instid0(VALU_DEP_3)
	v_fma_f32 v6, v10, 2.0, -v8
	scratch_load_b32 v10, off, off offset:356 ; 4-byte Folded Reload
	v_fma_f32 v2, v42, 2.0, -v5
	v_fma_f32 v3, v43, 2.0, -v4
	;; [unrolled: 1-line block ×3, first 2 shown]
	v_dual_add_f32 v4, v8, v4 :: v_dual_sub_f32 v5, v9, v5
	s_delay_alu instid0(VALU_DEP_2) | instskip(NEXT) | instid1(VALU_DEP_2)
	v_dual_sub_f32 v2, v6, v2 :: v_dual_sub_f32 v3, v7, v3
	v_fma_f32 v8, v8, 2.0, -v4
	s_delay_alu instid0(VALU_DEP_3) | instskip(NEXT) | instid1(VALU_DEP_3)
	v_fma_f32 v9, v9, 2.0, -v5
	v_fma_f32 v6, v6, 2.0, -v2
	s_delay_alu instid0(VALU_DEP_4)
	v_fma_f32 v7, v7, 2.0, -v3
	s_waitcnt vmcnt(0)
	ds_store_2addr_b64 v10, v[6:7], v[8:9] offset1:7
	ds_store_2addr_b64 v10, v[2:3], v[4:5] offset0:14 offset1:21
	scratch_load_b32 v10, off, off offset:352 ; 4-byte Folded Reload
	v_dual_sub_f32 v8, v12, v38 :: v_dual_sub_f32 v9, v13, v39
	v_dual_sub_f32 v5, v36, v28 :: v_dual_sub_f32 v4, v37, v29
	s_delay_alu instid0(VALU_DEP_2) | instskip(NEXT) | instid1(VALU_DEP_3)
	v_fma_f32 v6, v12, 2.0, -v8
	v_fma_f32 v7, v13, 2.0, -v9
	s_delay_alu instid0(VALU_DEP_3) | instskip(NEXT) | instid1(VALU_DEP_4)
	v_fma_f32 v2, v36, 2.0, -v5
	v_fma_f32 v3, v37, 2.0, -v4
	v_dual_add_f32 v4, v8, v4 :: v_dual_sub_f32 v5, v9, v5
	s_delay_alu instid0(VALU_DEP_2) | instskip(NEXT) | instid1(VALU_DEP_2)
	v_dual_sub_f32 v2, v6, v2 :: v_dual_sub_f32 v3, v7, v3
	v_fma_f32 v8, v8, 2.0, -v4
	s_delay_alu instid0(VALU_DEP_3) | instskip(NEXT) | instid1(VALU_DEP_3)
	v_fma_f32 v9, v9, 2.0, -v5
	v_fma_f32 v6, v6, 2.0, -v2
	s_delay_alu instid0(VALU_DEP_4)
	v_fma_f32 v7, v7, 2.0, -v3
	s_waitcnt vmcnt(0)
	ds_store_2addr_b64 v10, v[6:7], v[8:9] offset1:7
	ds_store_2addr_b64 v10, v[2:3], v[4:5] offset0:14 offset1:21
	scratch_load_b32 v8, off, off offset:348 ; 4-byte Folded Reload
	v_dual_sub_f32 v6, v0, v32 :: v_dual_sub_f32 v7, v1, v33
	v_dual_sub_f32 v3, v34, v30 :: v_dual_sub_f32 v2, v35, v31
	s_delay_alu instid0(VALU_DEP_2) | instskip(NEXT) | instid1(VALU_DEP_3)
	v_fma_f32 v4, v0, 2.0, -v6
	v_fma_f32 v5, v1, 2.0, -v7
	s_delay_alu instid0(VALU_DEP_3) | instskip(NEXT) | instid1(VALU_DEP_4)
	v_fma_f32 v0, v34, 2.0, -v3
	v_fma_f32 v1, v35, 2.0, -v2
	v_dual_add_f32 v2, v6, v2 :: v_dual_sub_f32 v3, v7, v3
	s_delay_alu instid0(VALU_DEP_2) | instskip(NEXT) | instid1(VALU_DEP_2)
	v_dual_sub_f32 v0, v4, v0 :: v_dual_sub_f32 v1, v5, v1
	v_fma_f32 v6, v6, 2.0, -v2
	s_delay_alu instid0(VALU_DEP_3) | instskip(NEXT) | instid1(VALU_DEP_3)
	v_fma_f32 v7, v7, 2.0, -v3
	v_fma_f32 v4, v4, 2.0, -v0
	s_delay_alu instid0(VALU_DEP_4)
	v_fma_f32 v5, v5, 2.0, -v1
	s_waitcnt vmcnt(0)
	ds_store_2addr_b64 v8, v[4:5], v[6:7] offset1:7
	ds_store_2addr_b64 v8, v[0:1], v[2:3] offset0:14 offset1:21
	s_waitcnt lgkmcnt(0)
	s_barrier
	buffer_gl0_inv
	ds_load_2addr_b64 v[0:3], v248 offset0:16 offset1:212
	ds_load_2addr_b64 v[4:7], v191 offset0:32 offset1:228
	;; [unrolled: 1-line block ×4, first 2 shown]
	s_waitcnt lgkmcnt(3)
	v_dual_mul_f32 v148, v216, v1 :: v_dual_mul_f32 v9, v73, v3
	s_waitcnt lgkmcnt(2)
	v_dual_mul_f32 v150, v218, v5 :: v_dual_mul_f32 v11, v75, v7
	s_waitcnt lgkmcnt(1)
	v_mul_f32_e32 v13, v184, v16
	v_fmac_f32_e32 v148, v215, v0
	v_mul_f32_e32 v0, v216, v0
	v_dual_fmac_f32 v9, v72, v2 :: v_dual_fmac_f32 v150, v217, v4
	v_fmac_f32_e32 v11, v74, v6
	v_fmac_f32_e32 v13, v183, v15
	s_delay_alu instid0(VALU_DEP_4) | instskip(SKIP_4) | instid1(VALU_DEP_3)
	v_fma_f32 v149, v215, v1, -v0
	v_mul_f32_e32 v0, v218, v4
	s_waitcnt lgkmcnt(0)
	v_mul_f32_e32 v26, v188, v49
	v_mul_f32_e32 v8, v214, v50
	v_fma_f32 v151, v217, v5, -v0
	v_mul_f32_e32 v0, v73, v2
	s_delay_alu instid0(VALU_DEP_4) | instskip(NEXT) | instid1(VALU_DEP_4)
	v_fmac_f32_e32 v26, v187, v48
	v_fma_f32 v8, v213, v51, -v8
	s_delay_alu instid0(VALU_DEP_3) | instskip(SKIP_1) | instid1(VALU_DEP_1)
	v_fma_f32 v10, v72, v3, -v0
	v_mul_f32_e32 v0, v75, v6
	v_fma_f32 v14, v74, v7, -v0
	ds_load_2addr_b64 v[0:3], v190 offset0:48 offset1:244
	ds_load_2addr_b64 v[4:7], v189 offset1:196
	s_waitcnt lgkmcnt(1)
	v_mul_f32_e32 v72, v69, v1
	s_waitcnt lgkmcnt(0)
	v_dual_mul_f32 v19, v65, v3 :: v_dual_mul_f32 v52, v71, v5
	v_mul_f32_e32 v22, v67, v7
	s_delay_alu instid0(VALU_DEP_3) | instskip(NEXT) | instid1(VALU_DEP_3)
	v_fmac_f32_e32 v72, v68, v0
	v_dual_mul_f32 v0, v69, v0 :: v_dual_fmac_f32 v19, v64, v2
	s_delay_alu instid0(VALU_DEP_4) | instskip(NEXT) | instid1(VALU_DEP_4)
	v_fmac_f32_e32 v52, v70, v4
	v_fmac_f32_e32 v22, v66, v6
	s_delay_alu instid0(VALU_DEP_3) | instskip(SKIP_1) | instid1(VALU_DEP_1)
	v_fma_f32 v68, v68, v1, -v0
	v_mul_f32_e32 v0, v71, v4
	v_fma_f32 v53, v70, v5, -v0
	v_mul_f32_e32 v0, v65, v2
	s_delay_alu instid0(VALU_DEP_1) | instskip(SKIP_1) | instid1(VALU_DEP_1)
	v_fma_f32 v20, v64, v3, -v0
	v_mul_f32_e32 v0, v67, v6
	v_fma_f32 v23, v66, v7, -v0
	ds_load_2addr_b64 v[0:3], v249 offset0:16 offset1:212
	ds_load_2addr_b64 v[4:7], v169 offset0:32 offset1:228
	v_add_f32_e32 v66, v20, v23
	s_waitcnt lgkmcnt(1)
	v_dual_mul_f32 v54, v61, v1 :: v_dual_mul_f32 v27, v172, v3
	s_waitcnt lgkmcnt(0)
	v_mul_f32_e32 v30, v174, v7
	v_mul_f32_e32 v56, v63, v5
	s_delay_alu instid0(VALU_DEP_3) | instskip(SKIP_1) | instid1(VALU_DEP_3)
	v_fmac_f32_e32 v54, v60, v0
	v_dual_mul_f32 v0, v61, v0 :: v_dual_fmac_f32 v27, v171, v2
	v_fmac_f32_e32 v56, v62, v4
	v_fmac_f32_e32 v30, v173, v6
	s_delay_alu instid0(VALU_DEP_3)
	v_fma_f32 v55, v60, v1, -v0
	v_mul_f32_e32 v0, v63, v4
	v_add_f32_e32 v61, v11, v27
	v_sub_f32_e32 v11, v11, v27
	ds_load_2addr_b64 v[44:47], v168 offset0:40 offset1:236
	v_add_f32_e32 v60, v9, v30
	v_fma_f32 v59, v62, v5, -v0
	v_mul_f32_e32 v0, v172, v2
	v_add_f32_e32 v62, v19, v22
	v_dual_sub_f32 v30, v9, v30 :: v_dual_sub_f32 v9, v22, v19
	s_delay_alu instid0(VALU_DEP_3) | instskip(SKIP_1) | instid1(VALU_DEP_4)
	v_fma_f32 v29, v171, v3, -v0
	v_mul_f32_e32 v0, v174, v6
	v_dual_mul_f32 v6, v214, v51 :: v_dual_sub_f32 v19, v60, v62
	s_delay_alu instid0(VALU_DEP_4) | instskip(NEXT) | instid1(VALU_DEP_4)
	v_add_f32_e32 v27, v9, v11
	v_add_f32_e32 v65, v14, v29
	s_delay_alu instid0(VALU_DEP_4)
	v_fma_f32 v31, v173, v7, -v0
	ds_load_2addr_b64 v[0:3], v237 offset0:24 offset1:220
	v_fmac_f32_e32 v6, v213, v50
	v_dual_add_f32 v50, v68, v53 :: v_dual_sub_f32 v53, v53, v68
	v_add_f32_e32 v64, v10, v31
	s_waitcnt lgkmcnt(1)
	v_mul_f32_e32 v34, v210, v45
	v_sub_f32_e32 v31, v10, v31
	v_sub_f32_e32 v14, v14, v29
	;; [unrolled: 1-line block ×4, first 2 shown]
	v_fmac_f32_e32 v34, v209, v44
	v_dual_sub_f32 v22, v64, v66 :: v_dual_sub_f32 v29, v9, v11
	v_mul_f32_e32 v19, 0x3f4a47b2, v19
	v_sub_f32_e32 v23, v66, v65
	v_add_f32_e32 v27, v27, v30
	s_delay_alu instid0(VALU_DEP_4) | instskip(SKIP_4) | instid1(VALU_DEP_1)
	v_mul_f32_e32 v22, 0x3f4a47b2, v22
	v_mul_f32_e32 v29, 0x3f08b237, v29
	v_sub_f32_e32 v11, v11, v30
	s_waitcnt lgkmcnt(0)
	v_mul_f32_e32 v7, v182, v1
	v_fmac_f32_e32 v7, v181, v0
	s_delay_alu instid0(VALU_DEP_1) | instskip(NEXT) | instid1(VALU_DEP_1)
	v_dual_mul_f32 v0, v182, v0 :: v_dual_add_f32 v69, v7, v34
	v_fma_f32 v12, v181, v1, -v0
	v_dual_mul_f32 v0, v184, v15 :: v_dual_mul_f32 v1, v194, v2
	v_sub_f32_e32 v7, v7, v34
	s_delay_alu instid0(VALU_DEP_2) | instskip(SKIP_1) | instid1(VALU_DEP_4)
	v_fma_f32 v21, v183, v16, -v0
	v_mul_f32_e32 v0, v194, v3
	v_fma_f32 v1, v193, v3, -v1
	s_delay_alu instid0(VALU_DEP_2) | instskip(SKIP_1) | instid1(VALU_DEP_2)
	v_dual_mul_f32 v3, v196, v17 :: v_dual_fmac_f32 v0, v193, v2
	v_mul_f32_e32 v2, v196, v18
	v_fma_f32 v3, v195, v18, -v3
	s_delay_alu instid0(VALU_DEP_2) | instskip(SKIP_4) | instid1(VALU_DEP_2)
	v_fmac_f32_e32 v2, v195, v17
	ds_load_2addr_b64 v[15:18], v176 offset0:56 offset1:252
	s_waitcnt lgkmcnt(0)
	v_mul_f32_e32 v4, v186, v15
	v_dual_mul_f32 v24, v186, v16 :: v_dual_mul_f32 v5, v212, v17
	v_fma_f32 v25, v185, v16, -v4
	v_mul_f32_e32 v4, v188, v48
	s_delay_alu instid0(VALU_DEP_3) | instskip(NEXT) | instid1(VALU_DEP_4)
	v_fmac_f32_e32 v24, v185, v15
	v_fma_f32 v5, v211, v18, -v5
	v_add_f32_e32 v48, v149, v59
	v_sub_f32_e32 v59, v149, v59
	v_fma_f32 v28, v187, v49, -v4
	v_dual_mul_f32 v4, v212, v18 :: v_dual_add_f32 v49, v151, v55
	v_dual_add_f32 v71, v24, v26 :: v_dual_add_f32 v160, v5, v8
	s_delay_alu instid0(VALU_DEP_3) | instskip(NEXT) | instid1(VALU_DEP_3)
	v_add_f32_e32 v152, v25, v28
	v_fmac_f32_e32 v4, v211, v17
	ds_load_2addr_b64 v[15:18], v170 offset0:24 offset1:220
	v_dual_sub_f32 v55, v151, v55 :: v_dual_add_f32 v156, v4, v6
	s_delay_alu instid0(VALU_DEP_1) | instskip(SKIP_1) | instid1(VALU_DEP_1)
	v_sub_f32_e32 v151, v53, v55
	s_waitcnt lgkmcnt(0)
	v_dual_mul_f32 v151, 0x3f08b237, v151 :: v_dual_mul_f32 v32, v208, v16
	s_delay_alu instid0(VALU_DEP_1) | instskip(NEXT) | instid1(VALU_DEP_1)
	v_fmac_f32_e32 v32, v207, v15
	v_dual_mul_f32 v15, v208, v15 :: v_dual_add_f32 v70, v13, v32
	s_delay_alu instid0(VALU_DEP_1) | instskip(SKIP_2) | instid1(VALU_DEP_3)
	v_fma_f32 v33, v207, v16, -v15
	v_dual_mul_f32 v15, v210, v44 :: v_dual_mul_f32 v16, v204, v17
	v_add_f32_e32 v44, v72, v52
	v_dual_sub_f32 v52, v52, v72 :: v_dual_add_f32 v75, v21, v33
	s_delay_alu instid0(VALU_DEP_3) | instskip(SKIP_3) | instid1(VALU_DEP_3)
	v_fma_f32 v35, v209, v45, -v15
	v_mul_f32_e32 v15, v204, v18
	v_fma_f32 v16, v203, v18, -v16
	v_mul_f32_e32 v18, v206, v46
	v_dual_add_f32 v74, v12, v35 :: v_dual_fmac_f32 v15, v203, v17
	v_mul_f32_e32 v17, v206, v47
	s_delay_alu instid0(VALU_DEP_3)
	v_fma_f32 v18, v205, v47, -v18
	v_add_f32_e32 v47, v150, v54
	v_add_f32_e32 v159, v3, v16
	;; [unrolled: 1-line block ×3, first 2 shown]
	v_dual_fmac_f32 v17, v205, v46 :: v_dual_add_f32 v46, v148, v56
	v_add_f32_e32 v158, v1, v18
	v_sub_f32_e32 v54, v150, v54
	v_sub_f32_e32 v56, v148, v56
	s_delay_alu instid0(VALU_DEP_4)
	v_add_f32_e32 v154, v0, v17
	v_add_f32_e32 v36, v47, v46
	v_sub_f32_e32 v68, v46, v44
	v_sub_f32_e32 v72, v44, v47
	;; [unrolled: 1-line block ×3, first 2 shown]
	v_add_f32_e32 v148, v52, v54
	v_add_f32_e32 v45, v44, v36
	;; [unrolled: 1-line block ×3, first 2 shown]
	v_sub_f32_e32 v44, v48, v50
	v_mul_f32_e32 v68, 0x3f4a47b2, v68
	v_sub_f32_e32 v52, v56, v52
	s_delay_alu instid0(VALU_DEP_4) | instskip(SKIP_4) | instid1(VALU_DEP_4)
	v_dual_add_f32 v150, v53, v55 :: v_dual_add_f32 v51, v50, v36
	v_add_f32_e32 v36, v61, v60
	v_sub_f32_e32 v50, v50, v49
	v_dual_sub_f32 v53, v59, v53 :: v_dual_mul_f32 v162, 0x3f4a47b2, v44
	v_mul_f32_e32 v149, 0x3f08b237, v149
	v_add_f32_e32 v63, v62, v36
	v_add_f32_e32 v36, v65, v64
	v_fmamk_f32 v44, v72, 0x3d64c772, v68
	v_add_f32_e32 v148, v148, v56
	v_add_f32_e32 v150, v150, v59
	s_delay_alu instid0(VALU_DEP_4) | instskip(SKIP_4) | instid1(VALU_DEP_2)
	v_dual_fmamk_f32 v166, v53, 0xbeae86e6, v151 :: v_dual_add_f32 v67, v66, v36
	ds_load_2addr_b64 v[36:39], v234 offset1:196
	v_dual_fmamk_f32 v167, v52, 0xbeae86e6, v149 :: v_dual_sub_f32 v2, v2, v15
	v_dual_fmac_f32 v166, 0xbee1c552, v150 :: v_dual_sub_f32 v3, v3, v16
	s_waitcnt lgkmcnt(0)
	v_dual_fmac_f32 v167, 0xbee1c552, v148 :: v_dual_add_f32 v40, v36, v45
	v_dual_add_f32 v36, v70, v69 :: v_dual_add_f32 v41, v37, v51
	v_add_f32_e32 v42, v38, v63
	v_add_f32_e32 v43, v39, v67
	s_delay_alu instid0(VALU_DEP_4) | instskip(NEXT) | instid1(VALU_DEP_4)
	v_fmamk_f32 v163, v45, 0xbf955555, v40
	v_add_f32_e32 v73, v71, v36
	v_add_f32_e32 v36, v75, v74
	v_dual_fmamk_f32 v51, v51, 0xbf955555, v41 :: v_dual_mov_b32 v180, v249
	s_delay_alu instid0(VALU_DEP_4) | instskip(NEXT) | instid1(VALU_DEP_3)
	v_add_f32_e32 v164, v44, v163
	v_dual_fmamk_f32 v44, v50, 0x3d64c772, v162 :: v_dual_add_f32 v153, v152, v36
	s_delay_alu instid0(VALU_DEP_1) | instskip(NEXT) | instid1(VALU_DEP_3)
	v_dual_add_f32 v36, v155, v154 :: v_dual_add_f32 v165, v44, v51
	v_add_f32_e32 v44, v166, v164
	s_delay_alu instid0(VALU_DEP_2) | instskip(NEXT) | instid1(VALU_DEP_3)
	v_dual_add_f32 v157, v156, v36 :: v_dual_add_f32 v36, v159, v158
	v_sub_f32_e32 v45, v165, v167
	s_delay_alu instid0(VALU_DEP_2)
	v_add_f32_e32 v161, v160, v36
	ds_load_2addr_b64 v[36:39], v197 offset0:8 offset1:204
	s_waitcnt lgkmcnt(0)
	s_barrier
	buffer_gl0_inv
	scratch_load_b32 v171, off, off offset:416 ; 4-byte Folded Reload
	v_add_f32_e32 v36, v36, v73
	v_add_f32_e32 v37, v37, v153
	;; [unrolled: 1-line block ×3, first 2 shown]
	s_delay_alu instid0(VALU_DEP_1)
	v_dual_add_f32 v39, v39, v161 :: v_dual_fmamk_f32 v16, v157, 0xbf955555, v38
	s_waitcnt vmcnt(0)
	ds_store_2addr_b64 v171, v[40:41], v[44:45] offset1:28
	v_sub_f32_e32 v44, v54, v56
	v_sub_f32_e32 v41, v49, v48
	;; [unrolled: 1-line block ×4, first 2 shown]
	v_mul_f32_e32 v46, 0x3d64c772, v72
	v_mul_f32_e32 v49, 0x3f5ff5aa, v44
	;; [unrolled: 1-line block ×3, first 2 shown]
	v_fma_f32 v48, 0xbf5ff5aa, v44, -v149
	v_fma_f32 v50, 0xbf5ff5aa, v45, -v151
	;; [unrolled: 1-line block ×3, first 2 shown]
	v_fmac_f32_e32 v49, 0x3eae86e6, v52
	v_mul_f32_e32 v52, 0x3f5ff5aa, v45
	v_fma_f32 v40, 0xbf3bfb3b, v40, -v68
	v_fma_f32 v47, 0x3f3bfb3b, v41, -v47
	;; [unrolled: 1-line block ×3, first 2 shown]
	v_add_f32_e32 v46, v46, v163
	s_delay_alu instid0(VALU_DEP_4) | instskip(NEXT) | instid1(VALU_DEP_4)
	v_dual_fmac_f32 v52, 0x3eae86e6, v53 :: v_dual_add_f32 v53, v40, v163
	v_add_f32_e32 v47, v47, v51
	s_delay_alu instid0(VALU_DEP_4) | instskip(NEXT) | instid1(VALU_DEP_3)
	v_dual_add_f32 v51, v41, v51 :: v_dual_fmac_f32 v50, 0xbee1c552, v150
	v_dual_fmac_f32 v52, 0xbee1c552, v150 :: v_dual_fmac_f32 v49, 0xbee1c552, v148
	v_fmac_f32_e32 v48, 0xbee1c552, v148
	s_delay_alu instid0(VALU_DEP_3) | instskip(NEXT) | instid1(VALU_DEP_3)
	v_sub_f32_e32 v44, v46, v50
	v_add_f32_e32 v40, v52, v53
	s_delay_alu instid0(VALU_DEP_4) | instskip(NEXT) | instid1(VALU_DEP_4)
	v_sub_f32_e32 v41, v51, v49
	v_add_f32_e32 v45, v48, v47
	ds_store_2addr_b64 v171, v[40:41], v[44:45] offset0:56 offset1:84
	v_dual_add_f32 v40, v50, v46 :: v_dual_sub_f32 v41, v47, v48
	v_dual_fmamk_f32 v47, v67, 0xbf955555, v43 :: v_dual_sub_f32 v44, v53, v52
	v_dual_add_f32 v45, v49, v51 :: v_dual_fmamk_f32 v46, v63, 0xbf955555, v42
	ds_store_2addr_b64 v171, v[40:41], v[44:45] offset0:112 offset1:140
	v_dual_sub_f32 v40, v164, v166 :: v_dual_add_f32 v41, v167, v165
	v_sub_f32_e32 v44, v31, v10
	ds_store_b64 v171, v[40:41] offset:1344
	v_sub_f32_e32 v40, v30, v9
	v_add_f32_e32 v9, v10, v14
	v_sub_f32_e32 v41, v10, v14
	s_delay_alu instid0(VALU_DEP_3) | instskip(NEXT) | instid1(VALU_DEP_3)
	v_dual_sub_f32 v14, v14, v31 :: v_dual_fmamk_f32 v51, v40, 0xbeae86e6, v29
	v_add_f32_e32 v45, v9, v31
	s_delay_alu instid0(VALU_DEP_3) | instskip(SKIP_1) | instid1(VALU_DEP_4)
	v_mul_f32_e32 v41, 0x3f08b237, v41
	v_dual_fmamk_f32 v9, v20, 0x3d64c772, v19 :: v_dual_mul_f32 v20, 0x3d64c772, v20
	v_fmac_f32_e32 v51, 0xbee1c552, v27
	s_delay_alu instid0(VALU_DEP_3) | instskip(NEXT) | instid1(VALU_DEP_3)
	v_fmamk_f32 v50, v44, 0xbeae86e6, v41
	v_dual_add_f32 v48, v9, v46 :: v_dual_fmamk_f32 v9, v23, 0x3d64c772, v22
	s_delay_alu instid0(VALU_DEP_1) | instskip(NEXT) | instid1(VALU_DEP_1)
	v_dual_fmac_f32 v50, 0xbee1c552, v45 :: v_dual_add_f32 v49, v9, v47
	v_dual_add_f32 v9, v50, v48 :: v_dual_sub_f32 v10, v49, v51
	ds_store_2addr_b64 v233, v[42:43], v[9:10] offset1:28
	v_sub_f32_e32 v9, v61, v60
	v_sub_f32_e32 v10, v65, v64
	s_delay_alu instid0(VALU_DEP_2) | instskip(SKIP_4) | instid1(VALU_DEP_4)
	v_fma_f32 v20, 0x3f3bfb3b, v9, -v20
	v_fma_f32 v9, 0xbf3bfb3b, v9, -v19
	v_mul_f32_e32 v19, 0x3d64c772, v23
	v_fma_f32 v23, 0xbf5ff5aa, v14, -v41
	v_mul_f32_e32 v14, 0x3f5ff5aa, v14
	v_add_f32_e32 v30, v9, v46
	s_delay_alu instid0(VALU_DEP_4)
	v_fma_f32 v19, 0x3f3bfb3b, v10, -v19
	v_fma_f32 v10, 0xbf3bfb3b, v10, -v22
	;; [unrolled: 1-line block ×3, first 2 shown]
	v_mul_f32_e32 v11, 0x3f5ff5aa, v11
	v_dual_fmac_f32 v14, 0x3eae86e6, v44 :: v_dual_add_f32 v29, v20, v46
	v_add_f32_e32 v31, v19, v47
	v_fmac_f32_e32 v23, 0xbee1c552, v45
	s_delay_alu instid0(VALU_DEP_4) | instskip(NEXT) | instid1(VALU_DEP_4)
	v_dual_fmac_f32 v11, 0x3eae86e6, v40 :: v_dual_add_f32 v40, v10, v47
	v_fmac_f32_e32 v14, 0xbee1c552, v45
	v_fmac_f32_e32 v22, 0xbee1c552, v27
	s_delay_alu instid0(VALU_DEP_4) | instskip(NEXT) | instid1(VALU_DEP_4)
	v_sub_f32_e32 v19, v29, v23
	v_fmac_f32_e32 v11, 0xbee1c552, v27
	s_delay_alu instid0(VALU_DEP_4) | instskip(NEXT) | instid1(VALU_DEP_4)
	v_add_f32_e32 v9, v14, v30
	v_add_f32_e32 v20, v22, v31
	s_delay_alu instid0(VALU_DEP_3)
	v_sub_f32_e32 v10, v40, v11
	ds_store_2addr_b64 v233, v[9:10], v[19:20] offset0:56 offset1:84
	v_add_f32_e32 v9, v23, v29
	v_sub_f32_e32 v10, v31, v22
	v_dual_sub_f32 v19, v30, v14 :: v_dual_add_f32 v20, v11, v40
	v_dual_sub_f32 v11, v12, v35 :: v_dual_sub_f32 v12, v13, v32
	v_sub_f32_e32 v13, v21, v33
	v_sub_f32_e32 v14, v69, v71
	ds_store_2addr_b64 v233, v[9:10], v[19:20] offset0:112 offset1:140
	v_dual_sub_f32 v9, v48, v50 :: v_dual_add_f32 v10, v51, v49
	v_dual_sub_f32 v19, v71, v70 :: v_dual_sub_f32 v20, v74, v152
	v_dual_mul_f32 v14, 0x3f4a47b2, v14 :: v_dual_sub_f32 v21, v152, v75
	ds_store_b64 v233, v[9:10] offset:1344
	v_dual_sub_f32 v9, v26, v24 :: v_dual_sub_f32 v10, v28, v25
	v_mul_f32_e32 v20, 0x3f4a47b2, v20
	v_fmamk_f32 v28, v73, 0xbf955555, v36
	v_fmamk_f32 v29, v153, 0xbf955555, v37
	s_delay_alu instid0(VALU_DEP_4) | instskip(SKIP_3) | instid1(VALU_DEP_3)
	v_add_f32_e32 v22, v9, v12
	v_dual_sub_f32 v23, v9, v12 :: v_dual_sub_f32 v24, v7, v9
	v_add_f32_e32 v9, v10, v13
	v_dual_sub_f32 v25, v10, v13 :: v_dual_sub_f32 v26, v11, v10
	v_mul_f32_e32 v23, 0x3f08b237, v23
	v_add_f32_e32 v22, v22, v7
	s_delay_alu instid0(VALU_DEP_4) | instskip(NEXT) | instid1(VALU_DEP_4)
	v_add_f32_e32 v27, v9, v11
	v_mul_f32_e32 v25, 0x3f08b237, v25
	v_fmamk_f32 v9, v19, 0x3d64c772, v14
	v_fmamk_f32 v33, v24, 0xbeae86e6, v23
	v_sub_f32_e32 v7, v12, v7
	s_delay_alu instid0(VALU_DEP_4) | instskip(NEXT) | instid1(VALU_DEP_4)
	v_dual_sub_f32 v11, v13, v11 :: v_dual_fmamk_f32 v32, v26, 0xbeae86e6, v25
	v_add_f32_e32 v30, v9, v28
	v_fmamk_f32 v9, v21, 0x3d64c772, v20
	v_fmac_f32_e32 v33, 0xbee1c552, v22
	v_mul_f32_e32 v12, 0x3d64c772, v19
	v_fmac_f32_e32 v32, 0xbee1c552, v27
	v_mul_f32_e32 v13, 0x3d64c772, v21
	v_add_f32_e32 v31, v9, v29
	v_fma_f32 v19, 0xbf5ff5aa, v11, -v25
	s_delay_alu instid0(VALU_DEP_2) | instskip(NEXT) | instid1(VALU_DEP_2)
	v_dual_add_f32 v9, v32, v30 :: v_dual_sub_f32 v10, v31, v33
	v_fmac_f32_e32 v19, 0xbee1c552, v27
	ds_store_2addr_b64 v201, v[36:37], v[9:10] offset1:28
	v_dual_sub_f32 v9, v70, v69 :: v_dual_sub_f32 v10, v75, v74
	s_delay_alu instid0(VALU_DEP_1) | instskip(SKIP_1) | instid1(VALU_DEP_3)
	v_fma_f32 v12, 0x3f3bfb3b, v9, -v12
	v_fma_f32 v9, 0xbf3bfb3b, v9, -v14
	;; [unrolled: 1-line block ×5, first 2 shown]
	v_mul_f32_e32 v7, 0x3f5ff5aa, v7
	v_dual_mul_f32 v20, 0x3f5ff5aa, v11 :: v_dual_add_f32 v21, v12, v28
	v_add_f32_e32 v23, v9, v28
	v_add_f32_e32 v13, v13, v29
	s_delay_alu instid0(VALU_DEP_3) | instskip(SKIP_2) | instid1(VALU_DEP_3)
	v_dual_fmac_f32 v7, 0x3eae86e6, v24 :: v_dual_fmac_f32 v20, 0x3eae86e6, v26
	v_add_f32_e32 v24, v10, v29
	v_dual_fmac_f32 v14, 0xbee1c552, v22 :: v_dual_sub_f32 v11, v21, v19
	v_dual_fmac_f32 v7, 0xbee1c552, v22 :: v_dual_fmac_f32 v20, 0xbee1c552, v27
	s_delay_alu instid0(VALU_DEP_2) | instskip(NEXT) | instid1(VALU_DEP_2)
	v_add_f32_e32 v12, v14, v13
	v_sub_f32_e32 v10, v24, v7
	s_delay_alu instid0(VALU_DEP_3)
	v_add_f32_e32 v9, v20, v23
	ds_store_2addr_b64 v201, v[9:10], v[11:12] offset0:56 offset1:84
	v_dual_add_f32 v9, v19, v21 :: v_dual_sub_f32 v10, v13, v14
	v_sub_f32_e32 v11, v23, v20
	v_dual_add_f32 v12, v7, v24 :: v_dual_sub_f32 v7, v0, v17
	v_sub_f32_e32 v0, v6, v4
	v_sub_f32_e32 v4, v154, v156
	v_sub_f32_e32 v6, v158, v160
	ds_store_2addr_b64 v201, v[9:10], v[11:12] offset0:112 offset1:140
	v_dual_sub_f32 v9, v30, v32 :: v_dual_add_f32 v10, v33, v31
	v_dual_sub_f32 v11, v0, v2 :: v_dual_sub_f32 v12, v7, v0
	v_mul_f32_e32 v4, 0x3f4a47b2, v4
	v_mul_f32_e32 v6, 0x3f4a47b2, v6
	ds_store_b64 v201, v[9:10] offset:1344
	v_sub_f32_e32 v9, v1, v18
	v_sub_f32_e32 v1, v8, v5
	;; [unrolled: 1-line block ×3, first 2 shown]
	v_add_f32_e32 v10, v0, v2
	v_sub_f32_e32 v8, v160, v159
	v_mul_f32_e32 v11, 0x3f08b237, v11
	v_add_f32_e32 v0, v1, v3
	v_sub_f32_e32 v13, v1, v3
	v_sub_f32_e32 v14, v9, v1
	v_dual_add_f32 v10, v10, v7 :: v_dual_fmamk_f32 v17, v161, 0xbf955555, v39
	s_delay_alu instid0(VALU_DEP_4) | instskip(NEXT) | instid1(VALU_DEP_4)
	v_add_f32_e32 v15, v0, v9
	v_mul_f32_e32 v13, 0x3f08b237, v13
	v_fmamk_f32 v0, v5, 0x3d64c772, v4
	v_dual_fmamk_f32 v21, v12, 0xbeae86e6, v11 :: v_dual_sub_f32 v2, v2, v7
	s_delay_alu instid0(VALU_DEP_3) | instskip(NEXT) | instid1(VALU_DEP_3)
	v_dual_sub_f32 v3, v3, v9 :: v_dual_fmamk_f32 v20, v14, 0xbeae86e6, v13
	v_add_f32_e32 v18, v0, v16
	v_fmamk_f32 v0, v8, 0x3d64c772, v6
	s_delay_alu instid0(VALU_DEP_4) | instskip(SKIP_4) | instid1(VALU_DEP_3)
	v_fmac_f32_e32 v21, 0xbee1c552, v10
	v_mul_f32_e32 v5, 0x3d64c772, v5
	v_fmac_f32_e32 v20, 0xbee1c552, v15
	v_mul_f32_e32 v7, 0x3f5ff5aa, v2
	v_add_f32_e32 v19, v0, v17
	v_dual_mul_f32 v9, 0x3f5ff5aa, v3 :: v_dual_add_f32 v0, v20, v18
	s_delay_alu instid0(VALU_DEP_3) | instskip(NEXT) | instid1(VALU_DEP_3)
	v_fmac_f32_e32 v7, 0x3eae86e6, v12
	v_sub_f32_e32 v1, v19, v21
	s_delay_alu instid0(VALU_DEP_3) | instskip(NEXT) | instid1(VALU_DEP_3)
	v_fmac_f32_e32 v9, 0x3eae86e6, v14
	v_fmac_f32_e32 v7, 0xbee1c552, v10
	ds_store_2addr_b64 v199, v[38:39], v[0:1] offset1:28
	v_sub_f32_e32 v0, v155, v154
	v_sub_f32_e32 v1, v159, v158
	v_fmac_f32_e32 v9, 0xbee1c552, v15
	s_delay_alu instid0(VALU_DEP_3) | instskip(SKIP_3) | instid1(VALU_DEP_4)
	v_fma_f32 v5, 0x3f3bfb3b, v0, -v5
	v_fma_f32 v0, 0xbf3bfb3b, v0, -v4
	v_mul_f32_e32 v4, 0x3d64c772, v8
	v_fma_f32 v8, 0xbf5ff5aa, v3, -v13
	v_add_f32_e32 v5, v5, v16
	s_delay_alu instid0(VALU_DEP_3) | instskip(SKIP_3) | instid1(VALU_DEP_4)
	v_fma_f32 v4, 0x3f3bfb3b, v1, -v4
	v_fma_f32 v1, 0xbf3bfb3b, v1, -v6
	;; [unrolled: 1-line block ×3, first 2 shown]
	v_dual_add_f32 v11, v0, v16 :: v_dual_fmac_f32 v8, 0xbee1c552, v15
	v_add_f32_e32 v4, v4, v17
	s_delay_alu instid0(VALU_DEP_4) | instskip(NEXT) | instid1(VALU_DEP_4)
	v_add_f32_e32 v12, v1, v17
	v_fmac_f32_e32 v6, 0xbee1c552, v10
	s_delay_alu instid0(VALU_DEP_4) | instskip(NEXT) | instid1(VALU_DEP_3)
	v_add_f32_e32 v0, v9, v11
	v_dual_sub_f32 v2, v5, v8 :: v_dual_sub_f32 v1, v12, v7
	s_delay_alu instid0(VALU_DEP_3)
	v_add_f32_e32 v3, v6, v4
	ds_store_2addr_b64 v199, v[0:1], v[2:3] offset0:56 offset1:84
	v_add_f32_e32 v0, v8, v5
	v_dual_sub_f32 v1, v4, v6 :: v_dual_sub_f32 v2, v11, v9
	v_add_f32_e32 v3, v7, v12
	ds_store_2addr_b64 v199, v[0:1], v[2:3] offset0:112 offset1:140
	v_dual_sub_f32 v0, v18, v20 :: v_dual_add_f32 v1, v21, v19
	ds_store_b64 v199, v[0:1] offset:1344
	s_waitcnt lgkmcnt(0)
	s_barrier
	buffer_gl0_inv
	scratch_load_b64 v[4:5], off, off offset:392 ; 8-byte Folded Reload
	ds_load_2addr_b64 v[0:3], v169 offset0:32 offset1:228
	s_waitcnt lgkmcnt(0)
	v_mul_f32_e32 v20, v236, v1
	s_delay_alu instid0(VALU_DEP_1) | instskip(SKIP_1) | instid1(VALU_DEP_1)
	v_fmac_f32_e32 v20, v235, v0
	v_mul_f32_e32 v0, v236, v0
	v_fma_f32 v21, v235, v1, -v0
	s_waitcnt vmcnt(0)
	v_mul_f32_e32 v22, v5, v3
	v_mul_f32_e32 v0, v5, v2
	s_delay_alu instid0(VALU_DEP_2) | instskip(NEXT) | instid1(VALU_DEP_2)
	v_fmac_f32_e32 v22, v4, v2
	v_fma_f32 v23, v4, v3, -v0
	ds_load_2addr_b64 v[0:3], v168 offset0:40 offset1:236
	s_waitcnt lgkmcnt(0)
	v_mul_f32_e32 v24, v232, v1
	v_mul_f32_e32 v26, v179, v3
	s_delay_alu instid0(VALU_DEP_2) | instskip(SKIP_1) | instid1(VALU_DEP_3)
	v_fmac_f32_e32 v24, v231, v0
	v_mul_f32_e32 v0, v232, v0
	v_fmac_f32_e32 v26, v178, v2
	s_delay_alu instid0(VALU_DEP_2) | instskip(SKIP_1) | instid1(VALU_DEP_1)
	v_fma_f32 v25, v231, v1, -v0
	v_mul_f32_e32 v0, v179, v2
	v_fma_f32 v27, v178, v3, -v0
	ds_load_2addr_b64 v[0:3], v170 offset0:24 offset1:220
	s_waitcnt lgkmcnt(0)
	v_mul_f32_e32 v28, v58, v3
	v_mul_f32_e32 v30, v222, v1
	s_delay_alu instid0(VALU_DEP_2) | instskip(SKIP_1) | instid1(VALU_DEP_3)
	v_fmac_f32_e32 v28, v57, v2
	v_mul_f32_e32 v2, v58, v2
	v_fmac_f32_e32 v30, v221, v0
	v_mul_f32_e32 v0, v222, v0
	s_delay_alu instid0(VALU_DEP_3) | instskip(NEXT) | instid1(VALU_DEP_2)
	v_fma_f32 v29, v57, v3, -v2
	v_fma_f32 v31, v221, v1, -v0
	ds_load_2addr_b64 v[0:3], v249 offset0:16 offset1:212
	s_waitcnt lgkmcnt(0)
	v_mul_f32_e32 v4, v222, v3
	v_mul_f32_e32 v32, v107, v1
	s_delay_alu instid0(VALU_DEP_2) | instskip(SKIP_1) | instid1(VALU_DEP_3)
	v_fmac_f32_e32 v4, v221, v2
	v_mul_f32_e32 v2, v222, v2
	v_fmac_f32_e32 v32, v106, v0
	v_mul_f32_e32 v0, v107, v0
	s_delay_alu instid0(VALU_DEP_3) | instskip(NEXT) | instid1(VALU_DEP_2)
	v_fma_f32 v5, v221, v3, -v2
	;; [unrolled: 12-line block ×5, first 2 shown]
	v_fma_f32 v45, v84, v1, -v0
	ds_load_2addr_b64 v[0:3], v189 offset1:196
	s_waitcnt lgkmcnt(0)
	v_mul_f32_e32 v46, v87, v3
	v_mul_f32_e32 v48, v83, v1
	s_delay_alu instid0(VALU_DEP_2) | instskip(SKIP_1) | instid1(VALU_DEP_3)
	v_fmac_f32_e32 v46, v86, v2
	v_mul_f32_e32 v2, v87, v2
	v_fmac_f32_e32 v48, v82, v0
	v_mul_f32_e32 v0, v83, v0
	s_delay_alu instid0(VALU_DEP_3) | instskip(NEXT) | instid1(VALU_DEP_2)
	v_fma_f32 v47, v86, v3, -v2
	v_fma_f32 v49, v82, v1, -v0
	ds_load_2addr_b64 v[0:3], v191 offset0:32 offset1:228
	s_waitcnt lgkmcnt(0)
	v_mul_f32_e32 v50, v81, v3
	v_mul_f32_e32 v52, v77, v1
	s_delay_alu instid0(VALU_DEP_2) | instskip(SKIP_1) | instid1(VALU_DEP_3)
	v_fmac_f32_e32 v50, v80, v2
	v_mul_f32_e32 v2, v81, v2
	v_fmac_f32_e32 v52, v76, v0
	v_mul_f32_e32 v0, v77, v0
	s_delay_alu instid0(VALU_DEP_3) | instskip(NEXT) | instid1(VALU_DEP_2)
	v_fma_f32 v51, v80, v3, -v2
	v_fma_f32 v53, v76, v1, -v0
	ds_load_2addr_b64 v[0:3], v176 offset0:56 offset1:252
	s_waitcnt lgkmcnt(0)
	v_mul_f32_e32 v6, v79, v1
	v_mul_f32_e32 v54, v79, v3
	s_delay_alu instid0(VALU_DEP_2) | instskip(SKIP_1) | instid1(VALU_DEP_3)
	v_fmac_f32_e32 v6, v78, v0
	v_mul_f32_e32 v0, v79, v0
	v_fmac_f32_e32 v54, v78, v2
	s_delay_alu instid0(VALU_DEP_2) | instskip(SKIP_1) | instid1(VALU_DEP_1)
	v_fma_f32 v7, v78, v1, -v0
	v_mul_f32_e32 v0, v79, v2
	v_fma_f32 v55, v78, v3, -v0
	ds_load_2addr_b64 v[0:3], v237 offset0:24 offset1:220
	s_waitcnt lgkmcnt(0)
	v_mul_f32_e32 v8, v77, v3
	s_delay_alu instid0(VALU_DEP_1) | instskip(SKIP_1) | instid1(VALU_DEP_2)
	v_fmac_f32_e32 v8, v76, v2
	v_mul_f32_e32 v2, v77, v2
	v_sub_f32_e32 v10, v8, v4
	s_delay_alu instid0(VALU_DEP_2) | instskip(NEXT) | instid1(VALU_DEP_2)
	v_fma_f32 v9, v76, v3, -v2
	v_fma_f32 v8, v8, 2.0, -v10
	s_delay_alu instid0(VALU_DEP_2) | instskip(SKIP_4) | instid1(VALU_DEP_1)
	v_sub_f32_e32 v11, v9, v5
	ds_load_2addr_b64 v[2:5], v234 offset1:196
	v_fma_f32 v9, v9, 2.0, -v11
	s_waitcnt lgkmcnt(0)
	v_dual_sub_f32 v6, v2, v6 :: v_dual_sub_f32 v7, v3, v7
	v_fma_f32 v12, v2, 2.0, -v6
	s_delay_alu instid0(VALU_DEP_2) | instskip(SKIP_1) | instid1(VALU_DEP_2)
	v_fma_f32 v13, v3, 2.0, -v7
	v_dual_add_f32 v14, v6, v11 :: v_dual_sub_f32 v15, v7, v10
	v_dual_sub_f32 v2, v12, v8 :: v_dual_sub_f32 v3, v13, v9
	s_delay_alu instid0(VALU_DEP_2) | instskip(NEXT) | instid1(VALU_DEP_3)
	v_fma_f32 v18, v6, 2.0, -v14
	v_fma_f32 v19, v7, 2.0, -v15
	s_delay_alu instid0(VALU_DEP_3) | instskip(NEXT) | instid1(VALU_DEP_4)
	v_fma_f32 v16, v12, 2.0, -v2
	v_fma_f32 v17, v13, 2.0, -v3
	ds_load_2addr_b64 v[6:9], v197 offset0:8 offset1:204
	ds_load_2addr_b64 v[10:13], v248 offset0:16 offset1:212
	s_waitcnt lgkmcnt(0)
	s_barrier
	buffer_gl0_inv
	ds_store_2addr_b64 v234, v[16:17], v[18:19] offset1:196
	ds_store_2addr_b64 v197, v[2:3], v[14:15] offset0:8 offset1:204
	v_dual_sub_f32 v16, v4, v54 :: v_dual_sub_f32 v17, v5, v55
	s_delay_alu instid0(VALU_DEP_1) | instskip(NEXT) | instid1(VALU_DEP_2)
	v_fma_f32 v14, v4, 2.0, -v16
	v_fma_f32 v15, v5, 2.0, -v17
	v_dual_sub_f32 v5, v52, v30 :: v_dual_sub_f32 v4, v53, v31
	s_delay_alu instid0(VALU_DEP_1) | instskip(NEXT) | instid1(VALU_DEP_2)
	v_fma_f32 v2, v52, 2.0, -v5
	v_fma_f32 v3, v53, 2.0, -v4
	v_dual_add_f32 v4, v16, v4 :: v_dual_sub_f32 v5, v17, v5
	s_delay_alu instid0(VALU_DEP_2) | instskip(NEXT) | instid1(VALU_DEP_2)
	v_dual_sub_f32 v2, v14, v2 :: v_dual_sub_f32 v3, v15, v3
	v_fma_f32 v16, v16, 2.0, -v4
	s_delay_alu instid0(VALU_DEP_3) | instskip(NEXT) | instid1(VALU_DEP_3)
	v_fma_f32 v17, v17, 2.0, -v5
	v_fma_f32 v14, v14, 2.0, -v2
	s_delay_alu instid0(VALU_DEP_4)
	v_fma_f32 v15, v15, 2.0, -v3
	ds_store_2addr_b64 v248, v[14:15], v[16:17] offset0:16 offset1:212
	ds_store_2addr_b64 v237, v[2:3], v[4:5] offset0:24 offset1:220
	scratch_load_b32 v16, off, off offset:368 ; 4-byte Folded Reload
	v_dual_sub_f32 v5, v50, v28 :: v_dual_sub_f32 v4, v51, v29
	v_dual_sub_f32 v14, v6, v48 :: v_dual_sub_f32 v15, v7, v49
	s_delay_alu instid0(VALU_DEP_2) | instskip(NEXT) | instid1(VALU_DEP_3)
	v_fma_f32 v2, v50, 2.0, -v5
	v_fma_f32 v3, v51, 2.0, -v4
	s_delay_alu instid0(VALU_DEP_3) | instskip(NEXT) | instid1(VALU_DEP_4)
	v_fma_f32 v6, v6, 2.0, -v14
	v_fma_f32 v7, v7, 2.0, -v15
	v_dual_add_f32 v4, v14, v4 :: v_dual_sub_f32 v5, v15, v5
	s_delay_alu instid0(VALU_DEP_2) | instskip(NEXT) | instid1(VALU_DEP_2)
	v_dual_sub_f32 v2, v6, v2 :: v_dual_sub_f32 v3, v7, v3
	v_fma_f32 v14, v14, 2.0, -v4
	s_delay_alu instid0(VALU_DEP_3) | instskip(NEXT) | instid1(VALU_DEP_3)
	v_fma_f32 v15, v15, 2.0, -v5
	v_fma_f32 v6, v6, 2.0, -v2
	s_delay_alu instid0(VALU_DEP_4) | instskip(SKIP_4) | instid1(VALU_DEP_1)
	v_fma_f32 v7, v7, 2.0, -v3
	s_waitcnt vmcnt(0)
	ds_store_2addr_b64 v16, v[6:7], v[14:15] offset0:32 offset1:228
	scratch_load_b32 v6, off, off offset:372 ; 4-byte Folded Reload
	v_dual_sub_f32 v14, v8, v46 :: v_dual_sub_f32 v15, v9, v47
	v_fma_f32 v7, v9, 2.0, -v15
	s_waitcnt vmcnt(0)
	ds_store_2addr_b64 v6, v[2:3], v[4:5] offset0:40 offset1:236
	v_sub_f32_e32 v4, v45, v21
	v_fma_f32 v6, v8, 2.0, -v14
	v_sub_f32_e32 v5, v44, v20
	s_delay_alu instid0(VALU_DEP_3) | instskip(SKIP_1) | instid1(VALU_DEP_3)
	v_fma_f32 v3, v45, 2.0, -v4
	v_add_f32_e32 v4, v14, v4
	v_fma_f32 v2, v44, 2.0, -v5
	v_sub_f32_e32 v5, v15, v5
	s_delay_alu instid0(VALU_DEP_4) | instskip(NEXT) | instid1(VALU_DEP_4)
	v_sub_f32_e32 v3, v7, v3
	v_fma_f32 v8, v14, 2.0, -v4
	scratch_load_b32 v14, off, off offset:376 ; 4-byte Folded Reload
	v_sub_f32_e32 v2, v6, v2
	v_fma_f32 v9, v15, 2.0, -v5
	v_fma_f32 v7, v7, 2.0, -v3
	s_delay_alu instid0(VALU_DEP_3) | instskip(SKIP_4) | instid1(VALU_DEP_1)
	v_fma_f32 v6, v6, 2.0, -v2
	s_waitcnt vmcnt(0)
	ds_store_2addr_b64 v14, v[6:7], v[8:9] offset0:48 offset1:244
	scratch_load_b32 v6, off, off offset:380 ; 4-byte Folded Reload
	v_dual_sub_f32 v8, v10, v40 :: v_dual_sub_f32 v9, v11, v41
	v_fma_f32 v7, v11, 2.0, -v9
	s_waitcnt vmcnt(0)
	ds_store_2addr_b64 v6, v[2:3], v[4:5] offset0:56 offset1:252
	v_fma_f32 v6, v10, 2.0, -v8
	scratch_load_b32 v10, off, off offset:384 ; 4-byte Folded Reload
	v_dual_sub_f32 v5, v42, v22 :: v_dual_sub_f32 v4, v43, v23
	s_delay_alu instid0(VALU_DEP_1) | instskip(NEXT) | instid1(VALU_DEP_2)
	v_fma_f32 v2, v42, 2.0, -v5
	v_fma_f32 v3, v43, 2.0, -v4
	v_dual_add_f32 v4, v8, v4 :: v_dual_sub_f32 v5, v9, v5
	s_delay_alu instid0(VALU_DEP_2) | instskip(NEXT) | instid1(VALU_DEP_2)
	v_dual_sub_f32 v2, v6, v2 :: v_dual_sub_f32 v3, v7, v3
	v_fma_f32 v8, v8, 2.0, -v4
	s_delay_alu instid0(VALU_DEP_3) | instskip(NEXT) | instid1(VALU_DEP_3)
	v_fma_f32 v9, v9, 2.0, -v5
	v_fma_f32 v6, v6, 2.0, -v2
	s_delay_alu instid0(VALU_DEP_4)
	v_fma_f32 v7, v7, 2.0, -v3
	s_waitcnt vmcnt(0)
	ds_store_2addr_b64 v10, v[6:7], v[8:9] offset1:196
	s_clause 0x1
	scratch_load_b32 v6, off, off offset:388
	scratch_load_b32 v10, off, off offset:412
	v_dual_sub_f32 v8, v12, v38 :: v_dual_sub_f32 v9, v13, v39
	s_delay_alu instid0(VALU_DEP_1) | instskip(SKIP_4) | instid1(VALU_DEP_2)
	v_fma_f32 v7, v13, 2.0, -v9
	s_waitcnt vmcnt(1)
	ds_store_2addr_b64 v6, v[2:3], v[4:5] offset0:8 offset1:204
	v_dual_sub_f32 v5, v36, v24 :: v_dual_sub_f32 v4, v37, v25
	v_fma_f32 v6, v12, 2.0, -v8
	v_fma_f32 v2, v36, 2.0, -v5
	s_delay_alu instid0(VALU_DEP_3) | instskip(SKIP_1) | instid1(VALU_DEP_2)
	v_fma_f32 v3, v37, 2.0, -v4
	v_dual_add_f32 v4, v8, v4 :: v_dual_sub_f32 v5, v9, v5
	v_dual_sub_f32 v2, v6, v2 :: v_dual_sub_f32 v3, v7, v3
	s_delay_alu instid0(VALU_DEP_2) | instskip(NEXT) | instid1(VALU_DEP_3)
	v_fma_f32 v8, v8, 2.0, -v4
	v_fma_f32 v9, v9, 2.0, -v5
	s_delay_alu instid0(VALU_DEP_3) | instskip(NEXT) | instid1(VALU_DEP_4)
	v_fma_f32 v6, v6, 2.0, -v2
	v_fma_f32 v7, v7, 2.0, -v3
	s_waitcnt vmcnt(0)
	ds_store_2addr_b64 v10, v[6:7], v[8:9] offset0:16 offset1:212
	s_clause 0x1
	scratch_load_b32 v6, off, off offset:404
	scratch_load_b32 v8, off, off offset:400
	v_sub_f32_e32 v7, v1, v33
	s_waitcnt vmcnt(1)
	ds_store_2addr_b64 v6, v[2:3], v[4:5] offset0:24 offset1:220
	v_dual_sub_f32 v6, v0, v32 :: v_dual_sub_f32 v3, v34, v26
	v_sub_f32_e32 v2, v35, v27
	v_fma_f32 v5, v1, 2.0, -v7
	s_delay_alu instid0(VALU_DEP_3) | instskip(NEXT) | instid1(VALU_DEP_4)
	v_fma_f32 v4, v0, 2.0, -v6
	v_fma_f32 v0, v34, 2.0, -v3
	s_delay_alu instid0(VALU_DEP_4) | instskip(SKIP_1) | instid1(VALU_DEP_2)
	v_fma_f32 v1, v35, 2.0, -v2
	v_dual_add_f32 v2, v6, v2 :: v_dual_sub_f32 v3, v7, v3
	v_dual_sub_f32 v0, v4, v0 :: v_dual_sub_f32 v1, v5, v1
	s_delay_alu instid0(VALU_DEP_2) | instskip(NEXT) | instid1(VALU_DEP_3)
	v_fma_f32 v6, v6, 2.0, -v2
	v_fma_f32 v7, v7, 2.0, -v3
	s_delay_alu instid0(VALU_DEP_3) | instskip(NEXT) | instid1(VALU_DEP_4)
	v_fma_f32 v4, v4, 2.0, -v0
	v_fma_f32 v5, v5, 2.0, -v1
	s_waitcnt vmcnt(0)
	ds_store_2addr_b64 v8, v[4:5], v[6:7] offset0:32 offset1:228
	scratch_load_b32 v4, off, off offset:408 ; 4-byte Folded Reload
	s_waitcnt vmcnt(0)
	ds_store_2addr_b64 v4, v[0:1], v[2:3] offset0:40 offset1:236
	s_waitcnt lgkmcnt(0)
	s_barrier
	buffer_gl0_inv
	ds_load_2addr_b64 v[0:3], v248 offset0:16 offset1:212
	ds_load_2addr_b64 v[4:7], v191 offset0:32 offset1:228
	;; [unrolled: 1-line block ×4, first 2 shown]
	s_waitcnt lgkmcnt(3)
	v_mul_f32_e32 v40, v97, v1
	v_mul_f32_e32 v12, v113, v3
	s_waitcnt lgkmcnt(2)
	v_mul_f32_e32 v42, v99, v5
	v_mul_f32_e32 v14, v115, v7
	s_waitcnt lgkmcnt(1)
	v_mul_f32_e32 v30, v143, v9
	v_fmac_f32_e32 v40, v96, v0
	v_mul_f32_e32 v0, v97, v0
	v_fmac_f32_e32 v12, v112, v2
	v_fmac_f32_e32 v42, v98, v4
	;; [unrolled: 1-line block ×4, first 2 shown]
	v_fma_f32 v41, v96, v1, -v0
	v_mul_f32_e32 v0, v99, v4
	s_waitcnt lgkmcnt(0)
	v_mul_f32_e32 v54, v139, v33
	s_delay_alu instid0(VALU_DEP_2) | instskip(SKIP_1) | instid1(VALU_DEP_3)
	v_fma_f32 v43, v98, v5, -v0
	v_mul_f32_e32 v0, v113, v2
	v_fmac_f32_e32 v54, v138, v32
	s_delay_alu instid0(VALU_DEP_2) | instskip(SKIP_1) | instid1(VALU_DEP_1)
	v_fma_f32 v13, v112, v3, -v0
	v_mul_f32_e32 v0, v115, v6
	v_fma_f32 v15, v114, v7, -v0
	ds_load_2addr_b64 v[0:3], v190 offset0:48 offset1:244
	ds_load_2addr_b64 v[4:7], v189 offset1:196
	s_waitcnt lgkmcnt(1)
	v_mul_f32_e32 v44, v129, v1
	v_mul_f32_e32 v16, v109, v3
	s_waitcnt lgkmcnt(0)
	v_mul_f32_e32 v46, v131, v5
	v_mul_f32_e32 v18, v111, v7
	v_fmac_f32_e32 v44, v128, v0
	v_mul_f32_e32 v0, v129, v0
	v_fmac_f32_e32 v16, v108, v2
	v_fmac_f32_e32 v46, v130, v4
	;; [unrolled: 1-line block ×3, first 2 shown]
	s_delay_alu instid0(VALU_DEP_4) | instskip(SKIP_1) | instid1(VALU_DEP_4)
	v_fma_f32 v45, v128, v1, -v0
	v_mul_f32_e32 v0, v131, v4
	v_add_f32_e32 v58, v44, v46
	s_delay_alu instid0(VALU_DEP_4) | instskip(NEXT) | instid1(VALU_DEP_3)
	v_add_f32_e32 v66, v16, v18
	v_fma_f32 v47, v130, v5, -v0
	v_mul_f32_e32 v0, v109, v2
	s_delay_alu instid0(VALU_DEP_2) | instskip(NEXT) | instid1(VALU_DEP_2)
	v_add_f32_e32 v62, v45, v47
	v_fma_f32 v17, v108, v3, -v0
	v_mul_f32_e32 v0, v111, v6
	s_delay_alu instid0(VALU_DEP_1)
	v_fma_f32 v19, v110, v7, -v0
	ds_load_2addr_b64 v[0:3], v249 offset0:16 offset1:212
	ds_load_2addr_b64 v[4:7], v169 offset0:32 offset1:228
	v_add_f32_e32 v70, v17, v19
	s_waitcnt lgkmcnt(1)
	v_mul_f32_e32 v48, v117, v1
	v_mul_f32_e32 v20, v101, v3
	s_waitcnt lgkmcnt(0)
	v_mul_f32_e32 v50, v119, v5
	v_mul_f32_e32 v22, v103, v7
	v_fmac_f32_e32 v48, v116, v0
	v_mul_f32_e32 v0, v117, v0
	v_fmac_f32_e32 v20, v100, v2
	v_fmac_f32_e32 v50, v118, v4
	;; [unrolled: 1-line block ×3, first 2 shown]
	v_add_f32_e32 v57, v42, v48
	v_fma_f32 v49, v116, v1, -v0
	v_mul_f32_e32 v0, v119, v4
	v_add_f32_e32 v56, v40, v50
	v_dual_add_f32 v64, v12, v22 :: v_dual_add_f32 v65, v14, v20
	s_delay_alu instid0(VALU_DEP_4) | instskip(NEXT) | instid1(VALU_DEP_4)
	v_add_f32_e32 v61, v43, v49
	v_fma_f32 v51, v118, v5, -v0
	v_mul_f32_e32 v0, v101, v2
	v_sub_f32_e32 v40, v40, v50
	v_sub_f32_e32 v22, v12, v22
	v_sub_f32_e32 v20, v14, v20
	v_add_f32_e32 v60, v41, v51
	v_fma_f32 v21, v100, v3, -v0
	v_dual_mul_f32 v0, v103, v6 :: v_dual_sub_f32 v41, v41, v51
	s_delay_alu instid0(VALU_DEP_2) | instskip(NEXT) | instid1(VALU_DEP_2)
	v_dual_sub_f32 v12, v18, v16 :: v_dual_add_f32 v69, v15, v21
	v_fma_f32 v27, v102, v7, -v0
	ds_load_2addr_b64 v[0:3], v237 offset0:24 offset1:220
	ds_load_2addr_b64 v[4:7], v177 offset0:40 offset1:236
	v_dual_sub_f32 v21, v15, v21 :: v_dual_add_f32 v68, v13, v27
	v_sub_f32_e32 v27, v13, v27
	v_sub_f32_e32 v13, v19, v17
	s_waitcnt lgkmcnt(1)
	v_mul_f32_e32 v23, v145, v1
	s_waitcnt lgkmcnt(0)
	v_mul_f32_e32 v25, v147, v5
	s_delay_alu instid0(VALU_DEP_2) | instskip(SKIP_1) | instid1(VALU_DEP_2)
	v_fmac_f32_e32 v23, v144, v0
	v_mul_f32_e32 v0, v145, v0
	v_dual_fmac_f32 v25, v146, v4 :: v_dual_add_f32 v18, v23, v54
	s_delay_alu instid0(VALU_DEP_2) | instskip(SKIP_2) | instid1(VALU_DEP_2)
	v_fma_f32 v24, v144, v1, -v0
	v_dual_mul_f32 v0, v147, v4 :: v_dual_mul_f32 v1, v125, v2
	v_sub_f32_e32 v19, v23, v54
	v_fma_f32 v26, v146, v5, -v0
	v_mul_f32_e32 v0, v125, v3
	s_delay_alu instid0(VALU_DEP_4) | instskip(SKIP_1) | instid1(VALU_DEP_3)
	v_fma_f32 v1, v124, v3, -v1
	v_mul_f32_e32 v3, v127, v6
	v_fmac_f32_e32 v0, v124, v2
	v_mul_f32_e32 v2, v127, v7
	s_delay_alu instid0(VALU_DEP_3) | instskip(NEXT) | instid1(VALU_DEP_2)
	v_fma_f32 v3, v126, v7, -v3
	v_fmac_f32_e32 v2, v126, v6
	ds_load_2addr_b64 v[4:7], v176 offset0:56 offset1:252
	s_waitcnt lgkmcnt(0)
	v_mul_f32_e32 v28, v141, v5
	s_delay_alu instid0(VALU_DEP_1) | instskip(SKIP_1) | instid1(VALU_DEP_2)
	v_fmac_f32_e32 v28, v140, v4
	v_mul_f32_e32 v4, v141, v4
	v_add_f32_e32 v14, v28, v30
	s_delay_alu instid0(VALU_DEP_2) | instskip(SKIP_3) | instid1(VALU_DEP_3)
	v_fma_f32 v29, v140, v5, -v4
	v_dual_mul_f32 v4, v143, v8 :: v_dual_mul_f32 v5, v121, v6
	v_dual_sub_f32 v15, v30, v28 :: v_dual_sub_f32 v28, v64, v66
	v_sub_f32_e32 v30, v68, v70
	v_fma_f32 v31, v142, v9, -v4
	v_mul_f32_e32 v4, v121, v7
	v_fma_f32 v5, v120, v7, -v5
	v_dual_mul_f32 v7, v123, v10 :: v_dual_mul_f32 v28, 0x3f4a47b2, v28
	s_delay_alu instid0(VALU_DEP_4) | instskip(NEXT) | instid1(VALU_DEP_4)
	v_add_f32_e32 v16, v29, v31
	v_fmac_f32_e32 v4, v120, v6
	v_mul_f32_e32 v6, v123, v11
	s_delay_alu instid0(VALU_DEP_4)
	v_fma_f32 v7, v122, v11, -v7
	v_sub_f32_e32 v17, v31, v29
	v_sub_f32_e32 v29, v66, v65
	;; [unrolled: 1-line block ×3, first 2 shown]
	v_fmac_f32_e32 v6, v122, v10
	ds_load_2addr_b64 v[8:11], v170 offset0:24 offset1:220
	v_mul_f32_e32 v30, 0x3f4a47b2, v30
	s_waitcnt lgkmcnt(0)
	v_mul_f32_e32 v52, v137, v9
	s_delay_alu instid0(VALU_DEP_1) | instskip(SKIP_1) | instid1(VALU_DEP_1)
	v_fmac_f32_e32 v52, v136, v8
	v_mul_f32_e32 v8, v137, v8
	v_fma_f32 v53, v136, v9, -v8
	v_mul_f32_e32 v8, v139, v32
	v_add_f32_e32 v32, v57, v56
	v_mul_f32_e32 v9, v133, v10
	s_delay_alu instid0(VALU_DEP_3) | instskip(NEXT) | instid1(VALU_DEP_3)
	v_fma_f32 v55, v138, v33, -v8
	v_add_f32_e32 v59, v58, v32
	v_add_f32_e32 v32, v61, v60
	v_mul_f32_e32 v8, v133, v11
	v_fma_f32 v9, v132, v11, -v9
	v_mul_f32_e32 v11, v135, v34
	v_add_f32_e32 v23, v24, v55
	v_add_f32_e32 v63, v62, v32
	;; [unrolled: 1-line block ×3, first 2 shown]
	v_fmac_f32_e32 v8, v132, v10
	v_mul_f32_e32 v10, v135, v35
	v_fma_f32 v11, v134, v35, -v11
	s_delay_alu instid0(VALU_DEP_4) | instskip(SKIP_1) | instid1(VALU_DEP_4)
	v_dual_sub_f32 v24, v24, v55 :: v_dual_add_f32 v67, v66, v32
	v_add_f32_e32 v32, v69, v68
	v_dual_fmac_f32 v10, v134, v34 :: v_dual_sub_f32 v55, v19, v15
	s_delay_alu instid0(VALU_DEP_2)
	v_add_f32_e32 v71, v70, v32
	ds_load_2addr_b64 v[32:35], v234 offset1:196
	s_waitcnt lgkmcnt(0)
	v_add_f32_e32 v36, v32, v59
	v_dual_add_f32 v37, v33, v63 :: v_dual_sub_f32 v32, v42, v48
	v_dual_sub_f32 v33, v43, v49 :: v_dual_sub_f32 v42, v46, v44
	v_dual_sub_f32 v43, v47, v45 :: v_dual_sub_f32 v44, v57, v56
	s_delay_alu instid0(VALU_DEP_3) | instskip(NEXT) | instid1(VALU_DEP_3)
	v_dual_sub_f32 v45, v58, v57 :: v_dual_sub_f32 v48, v32, v40
	v_sub_f32_e32 v50, v33, v41
	v_sub_f32_e32 v56, v56, v58
	;; [unrolled: 1-line block ×3, first 2 shown]
	v_add_f32_e32 v38, v34, v67
	v_sub_f32_e32 v47, v62, v61
	v_dual_add_f32 v34, v42, v32 :: v_dual_add_f32 v39, v35, v71
	v_sub_f32_e32 v46, v61, v60
	v_dual_sub_f32 v35, v42, v32 :: v_dual_add_f32 v32, v43, v33
	v_dual_sub_f32 v49, v43, v33 :: v_dual_sub_f32 v60, v40, v42
	v_sub_f32_e32 v62, v41, v43
	v_mul_f32_e32 v56, 0x3f4a47b2, v56
	v_mul_f32_e32 v58, 0x3f4a47b2, v58
	v_dual_mul_f32 v42, 0x3f5ff5aa, v50 :: v_dual_mul_f32 v43, 0x3f5ff5aa, v48
	v_dual_add_f32 v51, v34, v40 :: v_dual_mul_f32 v34, 0x3d64c772, v47
	v_fmamk_f32 v57, v59, 0xbf955555, v36
	v_fmamk_f32 v59, v63, 0xbf955555, v37
	v_mul_f32_e32 v33, 0x3d64c772, v45
	v_add_f32_e32 v61, v32, v41
	v_fma_f32 v40, 0xbf3bfb3b, v44, -v56
	v_fma_f32 v41, 0xbf3bfb3b, v46, -v58
	v_dual_fmac_f32 v42, 0x3eae86e6, v62 :: v_dual_fmac_f32 v43, 0x3eae86e6, v60
	v_fma_f32 v34, 0x3f3bfb3b, v46, -v34
	v_mul_f32_e32 v49, 0x3f08b237, v49
	v_mul_f32_e32 v63, 0x3f08b237, v35
	v_fma_f32 v33, 0x3f3bfb3b, v44, -v33
	v_add_f32_e32 v44, v40, v57
	v_add_f32_e32 v46, v41, v59
	v_dual_fmac_f32 v42, 0xbee1c552, v61 :: v_dual_fmac_f32 v43, 0xbee1c552, v51
	v_add_f32_e32 v72, v34, v59
	v_fma_f32 v34, 0xbf5ff5aa, v50, -v49
	v_fma_f32 v73, 0xbf5ff5aa, v48, -v63
	s_delay_alu instid0(VALU_DEP_4)
	v_add_f32_e32 v40, v42, v44
	v_dual_sub_f32 v41, v46, v43 :: v_dual_sub_f32 v42, v44, v42
	v_dual_add_f32 v43, v43, v46 :: v_dual_fmamk_f32 v44, v45, 0x3d64c772, v56
	v_fmamk_f32 v45, v47, 0x3d64c772, v58
	v_fmamk_f32 v46, v62, 0xbeae86e6, v49
	;; [unrolled: 1-line block ×3, first 2 shown]
	v_add_f32_e32 v35, v33, v57
	v_dual_fmac_f32 v34, 0xbee1c552, v61 :: v_dual_fmac_f32 v73, 0xbee1c552, v51
	v_dual_add_f32 v48, v44, v57 :: v_dual_add_f32 v49, v45, v59
	s_delay_alu instid0(VALU_DEP_4) | instskip(NEXT) | instid1(VALU_DEP_3)
	v_dual_fmac_f32 v46, 0xbee1c552, v61 :: v_dual_fmac_f32 v47, 0xbee1c552, v51
	v_dual_sub_f32 v32, v35, v34 :: v_dual_add_f32 v33, v73, v72
	v_dual_add_f32 v34, v34, v35 :: v_dual_sub_f32 v35, v72, v73
	s_delay_alu instid0(VALU_DEP_3)
	v_dual_add_f32 v44, v46, v48 :: v_dual_sub_f32 v45, v49, v47
	v_dual_sub_f32 v46, v48, v46 :: v_dual_add_f32 v47, v47, v49
	ds_store_b64 v234, v[40:41] offset:12544
	ds_store_b64 v234, v[32:33] offset:18816
	;; [unrolled: 1-line block ×6, first 2 shown]
	v_add_f32_e32 v40, v12, v20
	v_sub_f32_e32 v41, v12, v20
	v_sub_f32_e32 v42, v22, v12
	v_add_f32_e32 v12, v13, v21
	ds_load_2addr_b64 v[32:35], v197 offset0:8 offset1:204
	ds_store_2addr_b64 v234, v[36:37], v[38:39] offset1:196
	v_fmamk_f32 v36, v67, 0xbf955555, v38
	v_fmamk_f32 v37, v71, 0xbf955555, v39
	v_dual_add_f32 v45, v12, v27 :: v_dual_fmamk_f32 v12, v29, 0x3d64c772, v28
	v_dual_add_f32 v38, v25, v52 :: v_dual_add_f32 v39, v26, v53
	v_dual_sub_f32 v25, v25, v52 :: v_dual_sub_f32 v26, v26, v53
	s_delay_alu instid0(VALU_DEP_3) | instskip(SKIP_2) | instid1(VALU_DEP_2)
	v_add_f32_e32 v46, v12, v36
	v_dual_fmamk_f32 v12, v31, 0x3d64c772, v30 :: v_dual_sub_f32 v43, v13, v21
	v_dual_sub_f32 v44, v27, v13 :: v_dual_sub_f32 v51, v18, v14
	v_dual_sub_f32 v52, v14, v38 :: v_dual_add_f32 v47, v12, v37
	v_add_f32_e32 v12, v38, v18
	v_add_f32_e32 v13, v17, v26
	v_dual_sub_f32 v53, v23, v16 :: v_dual_sub_f32 v54, v16, v39
	s_delay_alu instid0(VALU_DEP_3) | instskip(SKIP_1) | instid1(VALU_DEP_4)
	v_dual_mul_f32 v41, 0x3f08b237, v41 :: v_dual_add_f32 v50, v14, v12
	v_add_f32_e32 v12, v39, v23
	v_dual_add_f32 v58, v13, v24 :: v_dual_mul_f32 v43, 0x3f08b237, v43
	v_sub_f32_e32 v56, v24, v17
	v_add_f32_e32 v40, v40, v22
	s_delay_alu instid0(VALU_DEP_4) | instskip(SKIP_3) | instid1(VALU_DEP_3)
	v_add_f32_e32 v14, v16, v12
	v_add_f32_e32 v12, v15, v25
	v_dual_sub_f32 v16, v15, v25 :: v_dual_sub_f32 v15, v17, v26
	s_waitcnt lgkmcnt(1)
	v_dual_fmamk_f32 v48, v42, 0xbeae86e6, v41 :: v_dual_add_f32 v13, v33, v14
	s_delay_alu instid0(VALU_DEP_3) | instskip(SKIP_4) | instid1(VALU_DEP_4)
	v_add_f32_e32 v57, v12, v19
	v_add_f32_e32 v12, v32, v50
	v_dual_mul_f32 v32, 0x3f4a47b2, v51 :: v_dual_mul_f32 v33, 0x3f4a47b2, v53
	v_mul_f32_e32 v51, 0x3f08b237, v16
	v_mul_f32_e32 v53, 0x3f08b237, v15
	v_fmamk_f32 v50, v50, 0xbf955555, v12
	v_fmamk_f32 v59, v14, 0xbf955555, v13
	;; [unrolled: 1-line block ×6, first 2 shown]
	v_fmac_f32_e32 v48, 0xbee1c552, v40
	v_add_f32_e32 v60, v14, v50
	v_fmamk_f32 v14, v54, 0x3d64c772, v33
	v_dual_fmac_f32 v49, 0xbee1c552, v45 :: v_dual_fmac_f32 v62, 0xbee1c552, v58
	v_fmac_f32_e32 v63, 0xbee1c552, v57
	v_sub_f32_e32 v15, v47, v48
	s_delay_alu instid0(VALU_DEP_3) | instskip(NEXT) | instid1(VALU_DEP_4)
	v_dual_add_f32 v61, v14, v59 :: v_dual_add_f32 v14, v49, v46
	v_add_f32_e32 v16, v62, v60
	v_sub_f32_e32 v20, v20, v22
	v_sub_f32_e32 v22, v65, v64
	s_delay_alu instid0(VALU_DEP_4)
	v_sub_f32_e32 v17, v61, v63
	v_sub_f32_e32 v21, v21, v27
	v_dual_sub_f32 v19, v25, v19 :: v_dual_sub_f32 v24, v26, v24
	v_sub_f32_e32 v64, v69, v68
	ds_store_2addr_b64 v202, v[14:15], v[16:17] offset0:20 offset1:216
	v_mul_f32_e32 v27, 0x3f5ff5aa, v20
	v_dual_mul_f32 v25, 0x3f5ff5aa, v21 :: v_dual_sub_f32 v18, v38, v18
	v_sub_f32_e32 v23, v39, v23
	v_mul_f32_e32 v26, 0x3f5ff5aa, v19
	v_mul_f32_e32 v38, 0x3f5ff5aa, v24
	v_fma_f32 v14, 0xbf3bfb3b, v22, -v28
	v_fmac_f32_e32 v27, 0x3eae86e6, v42
	s_delay_alu instid0(VALU_DEP_4) | instskip(NEXT) | instid1(VALU_DEP_4)
	v_dual_fmac_f32 v25, 0x3eae86e6, v44 :: v_dual_fmac_f32 v26, 0x3eae86e6, v55
	v_fmac_f32_e32 v38, 0x3eae86e6, v56
	v_fma_f32 v15, 0xbf3bfb3b, v64, -v30
	v_add_f32_e32 v28, v14, v36
	v_fma_f32 v14, 0xbf3bfb3b, v18, -v32
	v_fma_f32 v16, 0xbf3bfb3b, v23, -v33
	v_fmac_f32_e32 v25, 0xbee1c552, v45
	v_dual_add_f32 v30, v15, v37 :: v_dual_fmac_f32 v27, 0xbee1c552, v40
	s_delay_alu instid0(VALU_DEP_3) | instskip(SKIP_2) | instid1(VALU_DEP_4)
	v_dual_add_f32 v32, v14, v50 :: v_dual_add_f32 v33, v16, v59
	v_fmac_f32_e32 v38, 0xbee1c552, v58
	v_fmac_f32_e32 v26, 0xbee1c552, v57
	v_dual_add_f32 v14, v25, v28 :: v_dual_sub_f32 v15, v30, v27
	v_fma_f32 v20, 0xbf5ff5aa, v20, -v41
	s_delay_alu instid0(VALU_DEP_3) | instskip(SKIP_2) | instid1(VALU_DEP_4)
	v_dual_add_f32 v16, v38, v32 :: v_dual_sub_f32 v17, v33, v26
	v_fma_f32 v21, 0xbf5ff5aa, v21, -v43
	v_fma_f32 v19, 0xbf5ff5aa, v19, -v51
	v_fmac_f32_e32 v20, 0xbee1c552, v40
	ds_store_2addr_b64 v198, v[14:15], v[16:17] offset0:36 offset1:232
	v_dual_mul_f32 v14, 0x3d64c772, v29 :: v_dual_mul_f32 v15, 0x3d64c772, v31
	v_fmac_f32_e32 v21, 0xbee1c552, v45
	v_fmac_f32_e32 v19, 0xbee1c552, v57
	s_delay_alu instid0(VALU_DEP_3) | instskip(NEXT) | instid1(VALU_DEP_4)
	v_fma_f32 v14, 0x3f3bfb3b, v22, -v14
	v_fma_f32 v15, 0x3f3bfb3b, v64, -v15
	s_delay_alu instid0(VALU_DEP_1) | instskip(SKIP_1) | instid1(VALU_DEP_1)
	v_dual_add_f32 v22, v14, v36 :: v_dual_add_f32 v29, v15, v37
	v_dual_mul_f32 v14, 0x3d64c772, v52 :: v_dual_mul_f32 v15, 0x3d64c772, v54
	v_fma_f32 v14, 0x3f3bfb3b, v18, -v14
	s_delay_alu instid0(VALU_DEP_2) | instskip(SKIP_1) | instid1(VALU_DEP_2)
	v_fma_f32 v15, 0x3f3bfb3b, v23, -v15
	v_fma_f32 v18, 0xbf5ff5aa, v24, -v53
	v_dual_add_f32 v23, v14, v50 :: v_dual_add_f32 v24, v15, v59
	s_delay_alu instid0(VALU_DEP_2) | instskip(SKIP_2) | instid1(VALU_DEP_4)
	v_fmac_f32_e32 v18, 0xbee1c552, v58
	v_sub_f32_e32 v14, v22, v21
	v_add_f32_e32 v15, v20, v29
	v_add_f32_e32 v17, v19, v24
	s_delay_alu instid0(VALU_DEP_4)
	v_sub_f32_e32 v16, v23, v18
	ds_store_2addr_b64 v192, v[14:15], v[16:17] offset0:52 offset1:248
	v_add_f32_e32 v14, v21, v22
	v_dual_sub_f32 v15, v29, v20 :: v_dual_add_f32 v16, v18, v23
	v_sub_f32_e32 v17, v24, v19
	v_add_f32_e32 v18, v4, v6
	v_dual_add_f32 v20, v1, v11 :: v_dual_add_f32 v21, v3, v9
	v_add_f32_e32 v22, v5, v7
	ds_store_2addr_b64 v200, v[14:15], v[16:17] offset0:4 offset1:200
	v_dual_sub_f32 v14, v28, v25 :: v_dual_add_f32 v15, v27, v30
	v_dual_sub_f32 v16, v32, v38 :: v_dual_add_f32 v17, v26, v33
	v_dual_sub_f32 v4, v6, v4 :: v_dual_sub_f32 v11, v1, v11
	v_sub_f32_e32 v1, v3, v9
	v_sub_f32_e32 v5, v7, v5
	ds_store_2addr_b64 v219, v[14:15], v[16:17] offset0:20 offset1:216
	v_dual_sub_f32 v14, v46, v49 :: v_dual_add_f32 v15, v48, v47
	v_dual_sub_f32 v16, v60, v62 :: v_dual_add_f32 v17, v63, v61
	v_sub_f32_e32 v9, v22, v21
	v_sub_f32_e32 v7, v21, v20
	ds_store_2addr_b64 v220, v[14:15], v[16:17] offset0:36 offset1:232
	v_dual_add_f32 v16, v0, v10 :: v_dual_add_f32 v17, v2, v8
	v_sub_f32_e32 v10, v0, v10
	v_sub_f32_e32 v0, v2, v8
	s_delay_alu instid0(VALU_DEP_3) | instskip(SKIP_1) | instid1(VALU_DEP_3)
	v_add_f32_e32 v14, v17, v16
	v_sub_f32_e32 v6, v17, v16
	v_sub_f32_e32 v3, v4, v0
	v_add_f32_e32 v2, v4, v0
	v_sub_f32_e32 v8, v18, v17
	v_dual_add_f32 v19, v18, v14 :: v_dual_add_f32 v14, v21, v20
	v_sub_f32_e32 v16, v16, v18
	v_dual_sub_f32 v18, v20, v22 :: v_dual_sub_f32 v17, v1, v11
	s_delay_alu instid0(VALU_DEP_3) | instskip(NEXT) | instid1(VALU_DEP_4)
	v_add_f32_e32 v23, v22, v14
	v_add_f32_e32 v14, v34, v19
	s_delay_alu instid0(VALU_DEP_3) | instskip(NEXT) | instid1(VALU_DEP_3)
	v_mul_f32_e32 v18, 0x3f4a47b2, v18
	v_dual_mul_f32 v16, 0x3f4a47b2, v16 :: v_dual_add_f32 v15, v35, v23
	ds_store_2addr_b64 v197, v[12:13], v[14:15] offset0:8 offset1:204
	v_fmamk_f32 v12, v19, 0xbf955555, v14
	v_dual_fmamk_f32 v13, v23, 0xbf955555, v15 :: v_dual_sub_f32 v14, v0, v10
	v_mul_f32_e32 v23, 0x3f08b237, v3
	v_sub_f32_e32 v15, v5, v1
	v_dual_add_f32 v19, v2, v10 :: v_dual_mul_f32 v2, 0x3d64c772, v9
	v_add_f32_e32 v0, v5, v1
	s_delay_alu instid0(VALU_DEP_4)
	v_fma_f32 v25, 0xbf5ff5aa, v14, -v23
	v_sub_f32_e32 v10, v10, v4
	v_mul_f32_e32 v14, 0x3f5ff5aa, v14
	v_fma_f32 v2, 0x3f3bfb3b, v7, -v2
	v_mul_f32_e32 v15, 0x3f08b237, v15
	v_add_f32_e32 v21, v0, v11
	v_sub_f32_e32 v11, v11, v5
	v_fma_f32 v5, 0xbf3bfb3b, v7, -v18
	v_fmac_f32_e32 v14, 0x3eae86e6, v10
	v_add_f32_e32 v24, v2, v13
	v_fma_f32 v2, 0xbf5ff5aa, v17, -v15
	v_mul_f32_e32 v17, 0x3f5ff5aa, v17
	v_mul_f32_e32 v1, 0x3d64c772, v8
	v_dual_add_f32 v7, v5, v13 :: v_dual_fmac_f32 v14, 0xbee1c552, v19
	v_fma_f32 v4, 0xbf3bfb3b, v6, -v16
	s_delay_alu instid0(VALU_DEP_4) | instskip(NEXT) | instid1(VALU_DEP_4)
	v_fmac_f32_e32 v17, 0x3eae86e6, v11
	v_fma_f32 v1, 0x3f3bfb3b, v6, -v1
	s_delay_alu instid0(VALU_DEP_4)
	v_dual_fmamk_f32 v8, v8, 0x3d64c772, v16 :: v_dual_sub_f32 v5, v7, v14
	v_add_f32_e32 v7, v14, v7
	v_fmamk_f32 v9, v9, 0x3d64c772, v18
	v_fmamk_f32 v11, v11, 0xbeae86e6, v15
	;; [unrolled: 1-line block ×3, first 2 shown]
	v_dual_add_f32 v6, v4, v12 :: v_dual_fmac_f32 v17, 0xbee1c552, v21
	v_dual_add_f32 v3, v1, v12 :: v_dual_fmac_f32 v2, 0xbee1c552, v21
	v_dual_fmac_f32 v25, 0xbee1c552, v19 :: v_dual_add_f32 v10, v8, v12
	v_add_f32_e32 v12, v9, v13
	v_dual_fmac_f32 v11, 0xbee1c552, v21 :: v_dual_fmac_f32 v14, 0xbee1c552, v19
	v_add_f32_e32 v4, v17, v6
	s_delay_alu instid0(VALU_DEP_4)
	v_dual_sub_f32 v0, v3, v2 :: v_dual_add_f32 v1, v25, v24
	v_dual_add_f32 v2, v2, v3 :: v_dual_sub_f32 v3, v24, v25
	v_sub_f32_e32 v6, v6, v17
	v_add_f32_e32 v8, v11, v10
	v_dual_sub_f32 v9, v12, v14 :: v_dual_sub_f32 v10, v10, v11
	v_add_f32_e32 v11, v14, v12
	ds_store_b64 v234, v[4:5] offset:17248
	ds_store_b64 v234, v[0:1] offset:23520
	;; [unrolled: 1-line block ×6, first 2 shown]
	s_waitcnt lgkmcnt(0)
	s_barrier
	buffer_gl0_inv
	scratch_load_b64 v[5:6], off, off offset:224 ; 8-byte Folded Reload
	ds_load_2addr_b64 v[1:4], v234 offset1:196
	s_clause 0x1
	scratch_load_b64 v[11:12], off, off offset:176
	scratch_load_b64 v[19:20], off, off offset:144
	ds_load_2addr_b64 v[23:26], v189 offset1:196
	s_clause 0x2
	scratch_load_b64 v[28:29], off, off offset:120
	scratch_load_b64 v[33:34], off, off offset:160
	scratch_load_b32 v62, off, off offset:232
	s_waitcnt vmcnt(5) lgkmcnt(1)
	v_mul_f32_e32 v0, v6, v2
	s_delay_alu instid0(VALU_DEP_1) | instskip(SKIP_1) | instid1(VALU_DEP_1)
	v_fmac_f32_e32 v0, v5, v1
	v_mul_f32_e32 v1, v6, v1
	v_fma_f32 v1, v5, v2, -v1
	scratch_load_b64 v[5:6], off, off offset:200 ; 8-byte Folded Reload
	s_waitcnt vmcnt(0)
	v_mul_f32_e32 v2, v6, v4
	s_delay_alu instid0(VALU_DEP_1) | instskip(SKIP_1) | instid1(VALU_DEP_1)
	v_fmac_f32_e32 v2, v5, v3
	v_mul_f32_e32 v3, v6, v3
	v_fma_f32 v3, v5, v4, -v3
	ds_load_2addr_b64 v[4:7], v248 offset0:16 offset1:212
	scratch_load_b64 v[248:249], off, off offset:152 ; 8-byte Folded Reload
	s_waitcnt vmcnt(0) lgkmcnt(0)
	v_mul_f32_e32 v9, v249, v5
	s_delay_alu instid0(VALU_DEP_1) | instskip(SKIP_1) | instid1(VALU_DEP_1)
	v_fmac_f32_e32 v9, v248, v4
	v_mul_f32_e32 v4, v249, v4
	v_fma_f32 v10, v248, v5, -v4
	scratch_load_b64 v[248:249], off, off offset:136 ; 8-byte Folded Reload
	v_mul_f32_e32 v4, v12, v7
	v_mul_f32_e32 v5, v12, v6
	s_delay_alu instid0(VALU_DEP_2) | instskip(NEXT) | instid1(VALU_DEP_2)
	v_fmac_f32_e32 v4, v11, v6
	v_fma_f32 v6, v11, v7, -v5
	ds_load_2addr_b64 v[11:14], v191 offset0:32 offset1:228
	s_waitcnt vmcnt(0) lgkmcnt(0)
	v_mul_f32_e32 v16, v249, v12
	v_mul_f32_e32 v5, v249, v11
	s_delay_alu instid0(VALU_DEP_2) | instskip(NEXT) | instid1(VALU_DEP_2)
	v_fmac_f32_e32 v16, v248, v11
	v_fma_f32 v17, v248, v12, -v5
	scratch_load_b64 v[11:12], off, off offset:216 ; 8-byte Folded Reload
	s_waitcnt vmcnt(0)
	v_mul_f32_e32 v5, v12, v14
	v_mul_f32_e32 v7, v12, v13
	s_delay_alu instid0(VALU_DEP_2) | instskip(NEXT) | instid1(VALU_DEP_2)
	v_fmac_f32_e32 v5, v11, v13
	v_fma_f32 v8, v11, v14, -v7
	ds_load_2addr_b64 v[11:14], v190 offset0:48 offset1:244
	s_waitcnt lgkmcnt(0)
	v_mul_f32_e32 v18, v20, v12
	v_mul_f32_e32 v7, v20, v11
	scratch_load_b64 v[20:21], off, off offset:208 ; 8-byte Folded Reload
	v_fmac_f32_e32 v18, v19, v11
	v_fma_f32 v19, v19, v12, -v7
	s_waitcnt vmcnt(0)
	v_mul_f32_e32 v7, v21, v14
	v_mul_f32_e32 v11, v21, v13
	s_delay_alu instid0(VALU_DEP_2) | instskip(NEXT) | instid1(VALU_DEP_2)
	v_fmac_f32_e32 v7, v20, v13
	v_fma_f32 v12, v20, v14, -v11
	scratch_load_b64 v[13:14], off, off offset:128 ; 8-byte Folded Reload
	s_waitcnt vmcnt(0)
	v_mul_f32_e32 v22, v14, v24
	v_mul_f32_e32 v11, v14, v23
	scratch_load_b64 v[14:15], off, off offset:192 ; 8-byte Folded Reload
	v_fmac_f32_e32 v22, v13, v23
	v_fma_f32 v23, v13, v24, -v11
	s_waitcnt vmcnt(0)
	v_mul_f32_e32 v11, v15, v26
	v_mul_f32_e32 v13, v15, v25
	s_delay_alu instid0(VALU_DEP_2) | instskip(NEXT) | instid1(VALU_DEP_2)
	v_fmac_f32_e32 v11, v14, v25
	v_fma_f32 v13, v14, v26, -v13
	ds_load_2addr_b64 v[24:27], v180 offset0:16 offset1:212
	s_waitcnt lgkmcnt(0)
	v_mul_f32_e32 v20, v29, v25
	v_mul_f32_e32 v14, v29, v24
	scratch_load_b64 v[29:30], off, off offset:112 ; 8-byte Folded Reload
	v_fmac_f32_e32 v20, v28, v24
	v_fma_f32 v21, v28, v25, -v14
	scratch_load_b64 v[24:25], off, off offset:184 ; 8-byte Folded Reload
	s_waitcnt vmcnt(0)
	v_mul_f32_e32 v14, v25, v27
	v_mul_f32_e32 v15, v25, v26
	s_delay_alu instid0(VALU_DEP_2) | instskip(NEXT) | instid1(VALU_DEP_2)
	v_fmac_f32_e32 v14, v24, v26
	v_fma_f32 v15, v24, v27, -v15
	ds_load_2addr_b64 v[25:28], v169 offset0:32 offset1:228
	s_waitcnt lgkmcnt(0)
	v_mul_f32_e32 v24, v30, v26
	s_delay_alu instid0(VALU_DEP_1) | instskip(SKIP_1) | instid1(VALU_DEP_1)
	v_fmac_f32_e32 v24, v29, v25
	v_mul_f32_e32 v25, v30, v25
	v_fma_f32 v25, v29, v26, -v25
	scratch_load_b64 v[29:30], off, off offset:168 ; 8-byte Folded Reload
	s_waitcnt vmcnt(0)
	v_mul_f32_e32 v26, v30, v28
	s_delay_alu instid0(VALU_DEP_1) | instskip(SKIP_1) | instid1(VALU_DEP_1)
	v_fmac_f32_e32 v26, v29, v27
	v_mul_f32_e32 v27, v30, v27
	v_fma_f32 v28, v29, v28, -v27
	ds_load_2addr_b64 v[29:32], v197 offset0:8 offset1:204
	s_waitcnt lgkmcnt(0)
	v_mul_f32_e32 v27, v34, v30
	s_delay_alu instid0(VALU_DEP_1) | instskip(SKIP_1) | instid1(VALU_DEP_1)
	v_fmac_f32_e32 v27, v33, v29
	v_mul_f32_e32 v29, v34, v29
	v_fma_f32 v35, v33, v30, -v29
	scratch_load_b64 v[33:34], off, off offset:104 ; 8-byte Folded Reload
	s_waitcnt vmcnt(0)
	v_mul_f32_e32 v36, v34, v32
	v_mul_f32_e32 v29, v34, v31
	s_delay_alu instid0(VALU_DEP_2) | instskip(NEXT) | instid1(VALU_DEP_2)
	v_fmac_f32_e32 v36, v33, v31
	v_fma_f32 v37, v33, v32, -v29
	scratch_load_b64 v[33:34], off, off offset:40 ; 8-byte Folded Reload
	ds_load_2addr_b64 v[29:32], v237 offset0:24 offset1:220
	s_waitcnt vmcnt(0) lgkmcnt(0)
	v_mul_f32_e32 v38, v34, v30
	s_delay_alu instid0(VALU_DEP_1) | instskip(SKIP_1) | instid1(VALU_DEP_1)
	v_fmac_f32_e32 v38, v33, v29
	v_mul_f32_e32 v29, v34, v29
	v_fma_f32 v39, v33, v30, -v29
	scratch_load_b64 v[33:34], off, off offset:96 ; 8-byte Folded Reload
	s_waitcnt vmcnt(0)
	v_mul_f32_e32 v40, v34, v32
	v_mul_f32_e32 v29, v34, v31
	s_delay_alu instid0(VALU_DEP_2) | instskip(NEXT) | instid1(VALU_DEP_2)
	v_fmac_f32_e32 v40, v33, v31
	v_fma_f32 v41, v33, v32, -v29
	scratch_load_b64 v[33:34], off, off offset:48 ; 8-byte Folded Reload
	ds_load_2addr_b64 v[29:32], v177 offset0:40 offset1:236
	s_waitcnt vmcnt(0) lgkmcnt(0)
	;; [unrolled: 15-line block ×4, first 2 shown]
	v_mul_f32_e32 v50, v34, v30
	s_delay_alu instid0(VALU_DEP_1) | instskip(SKIP_1) | instid1(VALU_DEP_1)
	v_fmac_f32_e32 v50, v33, v29
	v_mul_f32_e32 v29, v34, v29
	v_fma_f32 v51, v33, v30, -v29
	scratch_load_b64 v[29:30], off, off offset:72 ; 8-byte Folded Reload
	s_waitcnt vmcnt(0)
	v_mul_f32_e32 v52, v30, v32
	v_dual_mov_b32 v34, v30 :: v_dual_mov_b32 v33, v29
	s_delay_alu instid0(VALU_DEP_2) | instskip(NEXT) | instid1(VALU_DEP_2)
	v_fmac_f32_e32 v52, v29, v31
	v_mul_f32_e32 v29, v34, v31
	s_delay_alu instid0(VALU_DEP_1) | instskip(SKIP_4) | instid1(VALU_DEP_1)
	v_fma_f32 v53, v33, v32, -v29
	scratch_load_b64 v[33:34], off, off offset:8 ; 8-byte Folded Reload
	ds_load_2addr_b64 v[29:32], v170 offset0:24 offset1:220
	s_waitcnt vmcnt(0) lgkmcnt(0)
	v_mul_f32_e32 v54, v34, v30
	v_fmac_f32_e32 v54, v33, v29
	v_mul_f32_e32 v29, v34, v29
	s_delay_alu instid0(VALU_DEP_1) | instskip(SKIP_4) | instid1(VALU_DEP_2)
	v_fma_f32 v55, v33, v30, -v29
	scratch_load_b64 v[33:34], off, off offset:64 ; 8-byte Folded Reload
	s_waitcnt vmcnt(0)
	v_mul_f32_e32 v56, v34, v32
	v_mul_f32_e32 v29, v34, v31
	v_fmac_f32_e32 v56, v33, v31
	s_delay_alu instid0(VALU_DEP_2) | instskip(SKIP_4) | instid1(VALU_DEP_1)
	v_fma_f32 v57, v33, v32, -v29
	scratch_load_b64 v[33:34], off, off offset:16 ; 8-byte Folded Reload
	ds_load_2addr_b64 v[29:32], v168 offset0:40 offset1:236
	s_waitcnt vmcnt(0) lgkmcnt(0)
	v_mul_f32_e32 v58, v34, v30
	v_fmac_f32_e32 v58, v33, v29
	v_mul_f32_e32 v29, v34, v29
	s_delay_alu instid0(VALU_DEP_1) | instskip(SKIP_4) | instid1(VALU_DEP_2)
	v_fma_f32 v59, v33, v30, -v29
	scratch_load_b64 v[33:34], off, off offset:56 ; 8-byte Folded Reload
	s_waitcnt vmcnt(0)
	v_mul_f32_e32 v60, v34, v32
	v_mul_f32_e32 v29, v34, v31
	v_fmac_f32_e32 v60, v33, v31
	s_delay_alu instid0(VALU_DEP_2) | instskip(SKIP_4) | instid1(SALU_CYCLE_1)
	v_fma_f32 v61, v33, v32, -v29
	scratch_load_b64 v[33:34], off, off     ; 8-byte Folded Reload
	s_waitcnt vmcnt(0)
	v_mad_u64_u32 v[29:30], null, s6, v33, 0
	s_mul_hi_u32 s6, s4, 0xffff7320
	s_sub_i32 s6, s6, s4
	s_delay_alu instid0(VALU_DEP_1) | instskip(NEXT) | instid1(VALU_DEP_1)
	v_mad_u64_u32 v[31:32], null, s7, v33, v[30:31]
	v_mov_b32_e32 v30, v31
	v_mad_u64_u32 v[31:32], null, s4, v62, 0
	s_mul_i32 s4, s4, 0xffff7320
	s_delay_alu instid0(VALU_DEP_2) | instskip(NEXT) | instid1(VALU_DEP_2)
	v_lshlrev_b64 v[29:30], 3, v[29:30]
	v_mad_u64_u32 v[33:34], null, s5, v62, v[32:33]
	s_mul_i32 s5, s5, 0xffff7320
	s_delay_alu instid0(SALU_CYCLE_1) | instskip(NEXT) | instid1(VALU_DEP_1)
	s_add_i32 s6, s6, s5
	v_mov_b32_e32 v32, v33
	s_delay_alu instid0(VALU_DEP_3) | instskip(SKIP_1) | instid1(VALU_DEP_3)
	v_add_co_u32 v33, vcc_lo, s0, v29
	v_add_co_ci_u32_e32 v34, vcc_lo, s1, v30, vcc_lo
	v_lshlrev_b64 v[29:30], 3, v[31:32]
	v_cvt_f64_f32_e32 v[31:32], v0
	v_cvt_f64_f32_e32 v[0:1], v1
	s_mov_b32 s0, 0x515a4f1d
	s_mov_b32 s1, 0x3f27e225
	s_delay_alu instid0(VALU_DEP_3) | instskip(SKIP_1) | instid1(VALU_DEP_4)
	v_add_co_u32 v29, vcc_lo, v33, v29
	v_add_co_ci_u32_e32 v30, vcc_lo, v34, v30, vcc_lo
	v_mul_f64 v[31:32], v[31:32], s[0:1]
	s_delay_alu instid0(VALU_DEP_4) | instskip(NEXT) | instid1(VALU_DEP_2)
	v_mul_f64 v[0:1], v[0:1], s[0:1]
	v_cvt_f32_f64_e32 v31, v[31:32]
	s_delay_alu instid0(VALU_DEP_2)
	v_cvt_f32_f64_e32 v32, v[0:1]
	v_cvt_f64_f32_e32 v[0:1], v9
	v_cvt_f64_f32_e32 v[9:10], v10
	global_store_b64 v[29:30], v[31:32], off
	v_mul_f64 v[0:1], v[0:1], s[0:1]
	v_mul_f64 v[9:10], v[9:10], s[0:1]
	v_cvt_f64_f32_e32 v[32:33], v56
	s_delay_alu instid0(VALU_DEP_3) | instskip(NEXT) | instid1(VALU_DEP_3)
	v_cvt_f32_f64_e32 v0, v[0:1]
	v_cvt_f32_f64_e32 v1, v[9:10]
	v_cvt_f64_f32_e32 v[9:10], v16
	v_cvt_f64_f32_e32 v[16:17], v17
	v_mul_f64 v[32:33], v[32:33], s[0:1]
	s_delay_alu instid0(VALU_DEP_3) | instskip(NEXT) | instid1(VALU_DEP_3)
	v_mul_f64 v[9:10], v[9:10], s[0:1]
	v_mul_f64 v[16:17], v[16:17], s[0:1]
	s_delay_alu instid0(VALU_DEP_2) | instskip(NEXT) | instid1(VALU_DEP_2)
	v_cvt_f32_f64_e32 v9, v[9:10]
	v_cvt_f32_f64_e32 v10, v[16:17]
	v_cvt_f64_f32_e32 v[16:17], v18
	v_cvt_f64_f32_e32 v[18:19], v19
	s_delay_alu instid0(VALU_DEP_2) | instskip(NEXT) | instid1(VALU_DEP_2)
	v_mul_f64 v[16:17], v[16:17], s[0:1]
	v_mul_f64 v[18:19], v[18:19], s[0:1]
	s_delay_alu instid0(VALU_DEP_2) | instskip(NEXT) | instid1(VALU_DEP_2)
	v_cvt_f32_f64_e32 v16, v[16:17]
	v_cvt_f32_f64_e32 v17, v[18:19]
	v_cvt_f64_f32_e32 v[18:19], v22
	v_cvt_f64_f32_e32 v[22:23], v23
	s_delay_alu instid0(VALU_DEP_2) | instskip(NEXT) | instid1(VALU_DEP_2)
	v_mul_f64 v[18:19], v[18:19], s[0:1]
	v_mul_f64 v[22:23], v[22:23], s[0:1]
	s_delay_alu instid0(VALU_DEP_2) | instskip(NEXT) | instid1(VALU_DEP_2)
	v_cvt_f32_f64_e32 v18, v[18:19]
	v_cvt_f32_f64_e32 v19, v[22:23]
	v_add_co_u32 v22, vcc_lo, v29, s3
	v_add_co_ci_u32_e32 v23, vcc_lo, s2, v30, vcc_lo
	v_cvt_f64_f32_e32 v[30:31], v52
	global_store_b64 v[22:23], v[0:1], off
	v_add_co_u32 v0, vcc_lo, v22, s3
	v_add_co_ci_u32_e32 v1, vcc_lo, s2, v23, vcc_lo
	v_cvt_f64_f32_e32 v[22:23], v36
	global_store_b64 v[0:1], v[9:10], off
	;; [unrolled: 4-line block ×3, first 2 shown]
	v_cvt_f64_f32_e32 v[16:17], v21
	v_add_co_u32 v0, vcc_lo, v0, s3
	v_add_co_ci_u32_e32 v1, vcc_lo, s2, v1, vcc_lo
	v_cvt_f64_f32_e32 v[20:21], v59
	global_store_b64 v[0:1], v[18:19], off
	v_cvt_f64_f32_e32 v[18:19], v25
	v_add_co_u32 v0, vcc_lo, v0, s3
	v_add_co_ci_u32_e32 v1, vcc_lo, s2, v1, vcc_lo
	v_mul_f64 v[30:31], v[30:31], s[0:1]
	v_mul_f64 v[22:23], v[22:23], s[0:1]
	;; [unrolled: 1-line block ×6, first 2 shown]
	v_cvt_f32_f64_e32 v30, v[30:31]
	v_cvt_f32_f64_e32 v22, v[22:23]
	;; [unrolled: 1-line block ×4, first 2 shown]
	v_cvt_f64_f32_e32 v[16:17], v24
	v_cvt_f64_f32_e32 v[24:25], v40
	global_store_b64 v[0:1], v[9:10], off
	v_mul_f64 v[16:17], v[16:17], s[0:1]
	v_cvt_f64_f32_e32 v[9:10], v2
	v_cvt_f64_f32_e32 v[2:3], v3
	v_add_co_u32 v0, vcc_lo, v0, s3
	v_add_co_ci_u32_e32 v1, vcc_lo, s2, v1, vcc_lo
	v_mul_f64 v[24:25], v[24:25], s[0:1]
	v_cvt_f32_f64_e32 v16, v[16:17]
	v_cvt_f32_f64_e32 v17, v[18:19]
	v_mul_f64 v[9:10], v[9:10], s[0:1]
	v_mul_f64 v[2:3], v[2:3], s[0:1]
	v_cvt_f32_f64_e32 v24, v[24:25]
	global_store_b64 v[0:1], v[16:17], off
	v_cvt_f32_f64_e32 v9, v[9:10]
	v_cvt_f32_f64_e32 v10, v[2:3]
	v_cvt_f64_f32_e32 v[2:3], v4
	v_cvt_f64_f32_e32 v[16:17], v6
	v_add_co_u32 v0, vcc_lo, v0, s4
	v_add_co_ci_u32_e32 v1, vcc_lo, s6, v1, vcc_lo
	v_cvt_f64_f32_e32 v[4:5], v5
	global_store_b64 v[0:1], v[9:10], off
	v_mul_f64 v[2:3], v[2:3], s[0:1]
	v_mul_f64 v[16:17], v[16:17], s[0:1]
	v_cvt_f64_f32_e32 v[8:9], v8
	v_add_co_u32 v0, vcc_lo, v0, s3
	v_add_co_ci_u32_e32 v1, vcc_lo, s2, v1, vcc_lo
	v_mul_f64 v[4:5], v[4:5], s[0:1]
	v_cvt_f32_f64_e32 v2, v[2:3]
	v_cvt_f32_f64_e32 v3, v[16:17]
	v_mul_f64 v[8:9], v[8:9], s[0:1]
	v_cvt_f64_f32_e32 v[16:17], v51
	v_cvt_f32_f64_e32 v4, v[4:5]
	global_store_b64 v[0:1], v[2:3], off
	v_cvt_f64_f32_e32 v[2:3], v7
	v_cvt_f64_f32_e32 v[6:7], v12
	v_cvt_f32_f64_e32 v5, v[8:9]
	v_add_co_u32 v0, vcc_lo, v0, s3
	v_add_co_ci_u32_e32 v1, vcc_lo, s2, v1, vcc_lo
	v_cvt_f64_f32_e32 v[8:9], v27
	v_mul_f64 v[16:17], v[16:17], s[0:1]
	v_mul_f64 v[2:3], v[2:3], s[0:1]
	;; [unrolled: 1-line block ×3, first 2 shown]
	global_store_b64 v[0:1], v[4:5], off
	v_cvt_f64_f32_e32 v[4:5], v11
	v_add_co_u32 v0, vcc_lo, v0, s3
	v_add_co_ci_u32_e32 v1, vcc_lo, s2, v1, vcc_lo
	v_mul_f64 v[8:9], v[8:9], s[0:1]
	v_cvt_f64_f32_e32 v[10:11], v38
	v_cvt_f32_f64_e32 v2, v[2:3]
	v_cvt_f32_f64_e32 v3, v[6:7]
	v_cvt_f64_f32_e32 v[6:7], v13
	v_mul_f64 v[4:5], v[4:5], s[0:1]
	v_cvt_f64_f32_e32 v[12:13], v42
	v_cvt_f32_f64_e32 v8, v[8:9]
	v_mul_f64 v[10:11], v[10:11], s[0:1]
	global_store_b64 v[0:1], v[2:3], off
	v_mul_f64 v[6:7], v[6:7], s[0:1]
	v_cvt_f32_f64_e32 v4, v[4:5]
	v_cvt_f64_f32_e32 v[2:3], v14
	v_add_co_u32 v0, vcc_lo, v0, s3
	v_add_co_ci_u32_e32 v1, vcc_lo, s2, v1, vcc_lo
	v_cvt_f32_f64_e32 v10, v[10:11]
	v_mul_f64 v[12:13], v[12:13], s[0:1]
	v_cvt_f32_f64_e32 v5, v[6:7]
	v_cvt_f64_f32_e32 v[6:7], v15
	v_mul_f64 v[2:3], v[2:3], s[0:1]
	v_cvt_f64_f32_e32 v[14:15], v50
	global_store_b64 v[0:1], v[4:5], off
	v_mul_f64 v[6:7], v[6:7], s[0:1]
	v_cvt_f32_f64_e32 v2, v[2:3]
	v_cvt_f64_f32_e32 v[4:5], v28
	v_add_co_u32 v0, vcc_lo, v0, s3
	v_add_co_ci_u32_e32 v1, vcc_lo, s2, v1, vcc_lo
	v_mul_f64 v[14:15], v[14:15], s[0:1]
	v_cvt_f64_f32_e32 v[28:29], v48
	v_cvt_f32_f64_e32 v3, v[6:7]
	v_cvt_f64_f32_e32 v[6:7], v26
	v_mul_f64 v[4:5], v[4:5], s[0:1]
	v_cvt_f64_f32_e32 v[26:27], v44
	v_cvt_f32_f64_e32 v14, v[14:15]
	v_cvt_f32_f64_e32 v15, v[16:17]
	v_cvt_f64_f32_e32 v[16:17], v49
	v_mul_f64 v[28:29], v[28:29], s[0:1]
	global_store_b64 v[0:1], v[2:3], off
	v_mul_f64 v[6:7], v[6:7], s[0:1]
	v_add_co_u32 v0, vcc_lo, v0, s3
	v_add_co_ci_u32_e32 v1, vcc_lo, s2, v1, vcc_lo
	v_cvt_f32_f64_e32 v2, v[12:13]
	v_cvt_f64_f32_e32 v[12:13], v47
	v_mul_f64 v[26:27], v[26:27], s[0:1]
	v_mul_f64 v[16:17], v[16:17], s[0:1]
	v_cvt_f32_f64_e32 v28, v[28:29]
	v_cvt_f32_f64_e32 v6, v[6:7]
	;; [unrolled: 1-line block ×3, first 2 shown]
	v_cvt_f64_f32_e32 v[4:5], v35
	v_cvt_f64_f32_e32 v[34:35], v60
	v_mul_f64 v[12:13], v[12:13], s[0:1]
	v_cvt_f32_f64_e32 v26, v[26:27]
	v_cvt_f32_f64_e32 v29, v[16:17]
	global_store_b64 v[0:1], v[6:7], off
	v_mul_f64 v[4:5], v[4:5], s[0:1]
	v_add_co_u32 v0, vcc_lo, v0, s4
	v_add_co_ci_u32_e32 v1, vcc_lo, s6, v1, vcc_lo
	v_cvt_f64_f32_e32 v[6:7], v54
	s_delay_alu instid0(VALU_DEP_3) | instskip(NEXT) | instid1(VALU_DEP_3)
	v_add_co_u32 v18, vcc_lo, v0, s3
	v_add_co_ci_u32_e32 v19, vcc_lo, s2, v1, vcc_lo
	v_mul_f64 v[34:35], v[34:35], s[0:1]
	v_cvt_f32_f64_e32 v9, v[4:5]
	v_cvt_f64_f32_e32 v[4:5], v39
	v_mul_f64 v[6:7], v[6:7], s[0:1]
	global_store_b64 v[0:1], v[8:9], off
	v_mul_f64 v[4:5], v[4:5], s[0:1]
	v_cvt_f64_f32_e32 v[0:1], v55
	v_cvt_f64_f32_e32 v[8:9], v58
	v_cvt_f32_f64_e32 v6, v[6:7]
	s_delay_alu instid0(VALU_DEP_4)
	v_cvt_f32_f64_e32 v11, v[4:5]
	v_cvt_f64_f32_e32 v[4:5], v43
	v_mul_f64 v[0:1], v[0:1], s[0:1]
	v_mul_f64 v[8:9], v[8:9], s[0:1]
	global_store_b64 v[18:19], v[10:11], off
	v_mul_f64 v[4:5], v[4:5], s[0:1]
	v_add_co_u32 v10, vcc_lo, v18, s3
	v_add_co_ci_u32_e32 v11, vcc_lo, s2, v19, vcc_lo
	v_cvt_f64_f32_e32 v[18:19], v37
	v_cvt_f32_f64_e32 v7, v[0:1]
	v_cvt_f64_f32_e32 v[0:1], v53
	v_cvt_f32_f64_e32 v8, v[8:9]
	v_cvt_f32_f64_e32 v9, v[20:21]
	v_cvt_f64_f32_e32 v[20:21], v57
	v_cvt_f32_f64_e32 v3, v[4:5]
	v_cvt_f64_f32_e32 v[4:5], v46
	v_mul_f64 v[18:19], v[18:19], s[0:1]
	v_mul_f64 v[0:1], v[0:1], s[0:1]
	;; [unrolled: 1-line block ×3, first 2 shown]
	global_store_b64 v[10:11], v[2:3], off
	v_mul_f64 v[4:5], v[4:5], s[0:1]
	v_cvt_f64_f32_e32 v[2:3], v41
	v_add_co_u32 v10, vcc_lo, v10, s3
	v_cvt_f32_f64_e32 v23, v[18:19]
	v_cvt_f64_f32_e32 v[18:19], v61
	v_add_co_ci_u32_e32 v11, vcc_lo, s2, v11, vcc_lo
	v_cvt_f32_f64_e32 v31, v[0:1]
	v_cvt_f32_f64_e32 v0, v[32:33]
	;; [unrolled: 1-line block ×6, first 2 shown]
	v_cvt_f64_f32_e32 v[12:13], v45
	v_mul_f64 v[2:3], v[2:3], s[0:1]
	v_mul_f64 v[18:19], v[18:19], s[0:1]
	global_store_b64 v[10:11], v[4:5], off
	v_mul_f64 v[12:13], v[12:13], s[0:1]
	v_cvt_f32_f64_e32 v25, v[2:3]
	v_add_co_u32 v2, vcc_lo, v10, s3
	v_add_co_ci_u32_e32 v3, vcc_lo, s2, v11, vcc_lo
	v_cvt_f32_f64_e32 v21, v[18:19]
	global_store_b64 v[2:3], v[14:15], off
	v_cvt_f32_f64_e32 v27, v[12:13]
	v_add_co_u32 v12, vcc_lo, v2, s3
	v_add_co_ci_u32_e32 v13, vcc_lo, s2, v3, vcc_lo
	s_delay_alu instid0(VALU_DEP_2) | instskip(NEXT) | instid1(VALU_DEP_2)
	v_add_co_u32 v16, vcc_lo, v12, s3
	v_add_co_ci_u32_e32 v17, vcc_lo, s2, v13, vcc_lo
	global_store_b64 v[12:13], v[6:7], off
	v_add_co_u32 v18, vcc_lo, v16, s4
	v_add_co_ci_u32_e32 v19, vcc_lo, s6, v17, vcc_lo
	global_store_b64 v[16:17], v[8:9], off
	v_add_co_u32 v4, vcc_lo, v18, s3
	v_add_co_ci_u32_e32 v5, vcc_lo, s2, v19, vcc_lo
	global_store_b64 v[18:19], v[22:23], off
	v_add_co_u32 v2, vcc_lo, v4, s3
	v_add_co_ci_u32_e32 v3, vcc_lo, s2, v5, vcc_lo
	global_store_b64 v[4:5], v[24:25], off
	v_add_co_u32 v6, vcc_lo, v2, s3
	v_add_co_ci_u32_e32 v7, vcc_lo, s2, v3, vcc_lo
	s_delay_alu instid0(VALU_DEP_2) | instskip(NEXT) | instid1(VALU_DEP_2)
	v_add_co_u32 v8, vcc_lo, v6, s3
	v_add_co_ci_u32_e32 v9, vcc_lo, s2, v7, vcc_lo
	s_delay_alu instid0(VALU_DEP_2) | instskip(NEXT) | instid1(VALU_DEP_2)
	;; [unrolled: 3-line block ×3, first 2 shown]
	v_add_co_u32 v4, vcc_lo, v10, s3
	v_add_co_ci_u32_e32 v5, vcc_lo, s2, v11, vcc_lo
	global_store_b64 v[2:3], v[26:27], off
	global_store_b64 v[6:7], v[28:29], off
	;; [unrolled: 1-line block ×5, first 2 shown]
.LBB0_2:
	s_nop 0
	s_sendmsg sendmsg(MSG_DEALLOC_VGPRS)
	s_endpgm
	.section	.rodata,"a",@progbits
	.p2align	6, 0x0
	.amdhsa_kernel bluestein_single_back_len5488_dim1_sp_op_CI_CI
		.amdhsa_group_segment_fixed_size 43904
		.amdhsa_private_segment_fixed_size 424
		.amdhsa_kernarg_size 104
		.amdhsa_user_sgpr_count 15
		.amdhsa_user_sgpr_dispatch_ptr 0
		.amdhsa_user_sgpr_queue_ptr 0
		.amdhsa_user_sgpr_kernarg_segment_ptr 1
		.amdhsa_user_sgpr_dispatch_id 0
		.amdhsa_user_sgpr_private_segment_size 0
		.amdhsa_wavefront_size32 1
		.amdhsa_uses_dynamic_stack 0
		.amdhsa_enable_private_segment 1
		.amdhsa_system_sgpr_workgroup_id_x 1
		.amdhsa_system_sgpr_workgroup_id_y 0
		.amdhsa_system_sgpr_workgroup_id_z 0
		.amdhsa_system_sgpr_workgroup_info 0
		.amdhsa_system_vgpr_workitem_id 0
		.amdhsa_next_free_vgpr 256
		.amdhsa_next_free_sgpr 20
		.amdhsa_reserve_vcc 1
		.amdhsa_float_round_mode_32 0
		.amdhsa_float_round_mode_16_64 0
		.amdhsa_float_denorm_mode_32 3
		.amdhsa_float_denorm_mode_16_64 3
		.amdhsa_dx10_clamp 1
		.amdhsa_ieee_mode 1
		.amdhsa_fp16_overflow 0
		.amdhsa_workgroup_processor_mode 1
		.amdhsa_memory_ordered 1
		.amdhsa_forward_progress 0
		.amdhsa_shared_vgpr_count 0
		.amdhsa_exception_fp_ieee_invalid_op 0
		.amdhsa_exception_fp_denorm_src 0
		.amdhsa_exception_fp_ieee_div_zero 0
		.amdhsa_exception_fp_ieee_overflow 0
		.amdhsa_exception_fp_ieee_underflow 0
		.amdhsa_exception_fp_ieee_inexact 0
		.amdhsa_exception_int_div_zero 0
	.end_amdhsa_kernel
	.text
.Lfunc_end0:
	.size	bluestein_single_back_len5488_dim1_sp_op_CI_CI, .Lfunc_end0-bluestein_single_back_len5488_dim1_sp_op_CI_CI
                                        ; -- End function
	.section	.AMDGPU.csdata,"",@progbits
; Kernel info:
; codeLenInByte = 33040
; NumSgprs: 22
; NumVgprs: 256
; ScratchSize: 424
; MemoryBound: 0
; FloatMode: 240
; IeeeMode: 1
; LDSByteSize: 43904 bytes/workgroup (compile time only)
; SGPRBlocks: 2
; VGPRBlocks: 31
; NumSGPRsForWavesPerEU: 22
; NumVGPRsForWavesPerEU: 256
; Occupancy: 4
; WaveLimiterHint : 1
; COMPUTE_PGM_RSRC2:SCRATCH_EN: 1
; COMPUTE_PGM_RSRC2:USER_SGPR: 15
; COMPUTE_PGM_RSRC2:TRAP_HANDLER: 0
; COMPUTE_PGM_RSRC2:TGID_X_EN: 1
; COMPUTE_PGM_RSRC2:TGID_Y_EN: 0
; COMPUTE_PGM_RSRC2:TGID_Z_EN: 0
; COMPUTE_PGM_RSRC2:TIDIG_COMP_CNT: 0
	.text
	.p2alignl 7, 3214868480
	.fill 96, 4, 3214868480
	.type	__hip_cuid_e1a39ebcdd84e583,@object ; @__hip_cuid_e1a39ebcdd84e583
	.section	.bss,"aw",@nobits
	.globl	__hip_cuid_e1a39ebcdd84e583
__hip_cuid_e1a39ebcdd84e583:
	.byte	0                               ; 0x0
	.size	__hip_cuid_e1a39ebcdd84e583, 1

	.ident	"AMD clang version 19.0.0git (https://github.com/RadeonOpenCompute/llvm-project roc-6.4.0 25133 c7fe45cf4b819c5991fe208aaa96edf142730f1d)"
	.section	".note.GNU-stack","",@progbits
	.addrsig
	.addrsig_sym __hip_cuid_e1a39ebcdd84e583
	.amdgpu_metadata
---
amdhsa.kernels:
  - .args:
      - .actual_access:  read_only
        .address_space:  global
        .offset:         0
        .size:           8
        .value_kind:     global_buffer
      - .actual_access:  read_only
        .address_space:  global
        .offset:         8
        .size:           8
        .value_kind:     global_buffer
      - .actual_access:  read_only
        .address_space:  global
        .offset:         16
        .size:           8
        .value_kind:     global_buffer
      - .actual_access:  read_only
        .address_space:  global
        .offset:         24
        .size:           8
        .value_kind:     global_buffer
      - .actual_access:  read_only
        .address_space:  global
        .offset:         32
        .size:           8
        .value_kind:     global_buffer
      - .offset:         40
        .size:           8
        .value_kind:     by_value
      - .address_space:  global
        .offset:         48
        .size:           8
        .value_kind:     global_buffer
      - .address_space:  global
        .offset:         56
        .size:           8
        .value_kind:     global_buffer
      - .address_space:  global
        .offset:         64
        .size:           8
        .value_kind:     global_buffer
      - .address_space:  global
        .offset:         72
        .size:           8
        .value_kind:     global_buffer
      - .offset:         80
        .size:           4
        .value_kind:     by_value
      - .address_space:  global
        .offset:         88
        .size:           8
        .value_kind:     global_buffer
      - .address_space:  global
        .offset:         96
        .size:           8
        .value_kind:     global_buffer
    .group_segment_fixed_size: 43904
    .kernarg_segment_align: 8
    .kernarg_segment_size: 104
    .language:       OpenCL C
    .language_version:
      - 2
      - 0
    .max_flat_workgroup_size: 196
    .name:           bluestein_single_back_len5488_dim1_sp_op_CI_CI
    .private_segment_fixed_size: 424
    .sgpr_count:     22
    .sgpr_spill_count: 0
    .symbol:         bluestein_single_back_len5488_dim1_sp_op_CI_CI.kd
    .uniform_work_group_size: 1
    .uses_dynamic_stack: false
    .vgpr_count:     256
    .vgpr_spill_count: 105
    .wavefront_size: 32
    .workgroup_processor_mode: 1
amdhsa.target:   amdgcn-amd-amdhsa--gfx1100
amdhsa.version:
  - 1
  - 2
...

	.end_amdgpu_metadata
